;; amdgpu-corpus repo=ROCm/rocFFT kind=compiled arch=gfx1030 opt=O3
	.text
	.amdgcn_target "amdgcn-amd-amdhsa--gfx1030"
	.amdhsa_code_object_version 6
	.protected	bluestein_single_fwd_len2016_dim1_sp_op_CI_CI ; -- Begin function bluestein_single_fwd_len2016_dim1_sp_op_CI_CI
	.globl	bluestein_single_fwd_len2016_dim1_sp_op_CI_CI
	.p2align	8
	.type	bluestein_single_fwd_len2016_dim1_sp_op_CI_CI,@function
bluestein_single_fwd_len2016_dim1_sp_op_CI_CI: ; @bluestein_single_fwd_len2016_dim1_sp_op_CI_CI
; %bb.0:
	s_load_dwordx4 s[8:11], s[4:5], 0x28
	v_mul_u32_u24_e32 v1, 0x24a, v0
	v_mov_b32_e32 v99, 0
	s_mov_b32 s0, exec_lo
	v_lshrrev_b32_e32 v2, 16, v1
	v_lshl_add_u32 v98, s6, 1, v2
	s_waitcnt lgkmcnt(0)
	v_cmpx_gt_u64_e64 s[8:9], v[98:99]
	s_cbranch_execz .LBB0_10
; %bb.1:
	s_clause 0x1
	s_load_dwordx4 s[0:3], s[4:5], 0x18
	s_load_dwordx4 s[12:15], s[4:5], 0x0
	v_mul_lo_u16 v1, 0x70, v2
                                        ; implicit-def: $vgpr159
	v_sub_nc_u16 v10, v0, v1
	v_and_b32_e32 v163, 0xffff, v10
	v_lshlrev_b32_e32 v1, 3, v163
	v_or_b32_e32 v161, 0x700, v163
	v_or_b32_e32 v162, 0x380, v163
	s_waitcnt lgkmcnt(0)
	s_load_dwordx4 s[16:19], s[0:1], 0x0
	s_clause 0x2
	global_load_dwordx2 v[129:130], v1, s[12:13]
	global_load_dwordx2 v[127:128], v1, s[12:13] offset:896
	global_load_dwordx2 v[117:118], v1, s[12:13] offset:1792
	v_add_co_u32 v53, s0, s12, v1
	v_add_co_ci_u32_e64 v54, null, s13, 0, s0
	v_lshlrev_b32_e32 v201, 3, v161
	v_add_co_u32 v3, vcc_lo, 0x1800, v53
	v_add_co_ci_u32_e32 v4, vcc_lo, 0, v54, vcc_lo
	v_add_co_u32 v5, vcc_lo, 0x2000, v53
	v_add_co_ci_u32_e32 v6, vcc_lo, 0, v54, vcc_lo
	s_clause 0x2
	global_load_dwordx2 v[131:132], v[3:4], off offset:1920
	global_load_dwordx2 v[123:124], v[5:6], off offset:768
	;; [unrolled: 1-line block ×3, first 2 shown]
	v_add_co_u32 v7, vcc_lo, 0x800, v53
	s_waitcnt lgkmcnt(0)
	v_mad_u64_u32 v[5:6], null, s18, v98, 0
	v_mad_u64_u32 v[11:12], null, s16, v163, 0
	;; [unrolled: 1-line block ×4, first 2 shown]
	v_mov_b32_e32 v0, v6
	v_add_co_ci_u32_e32 v8, vcc_lo, 0, v54, vcc_lo
	v_mov_b32_e32 v6, v12
	s_mul_i32 s0, s17, 0x1f80
	v_mad_u64_u32 v[17:18], null, s19, v98, v[0:1]
	v_mov_b32_e32 v0, v14
	v_mad_u64_u32 v[18:19], null, s17, v163, v[6:7]
	v_mov_b32_e32 v9, v16
	s_mul_hi_u32 s1, s16, 0x1f80
	s_mul_i32 s6, s16, 0x1f80
	v_mov_b32_e32 v6, v17
	v_mad_u64_u32 v[16:17], null, s17, v161, v[0:1]
	v_mov_b32_e32 v12, v18
	v_mad_u64_u32 v[17:18], null, s17, v162, v[9:10]
	v_lshlrev_b64 v[5:6], 3, v[5:6]
	s_add_i32 s1, s1, s0
	v_lshlrev_b64 v[11:12], 3, v[11:12]
	s_mul_hi_u32 s8, s16, 0xffffe400
	v_mov_b32_e32 v14, v16
	s_mul_i32 s7, s17, 0xffffe400
	v_add_co_u32 v0, vcc_lo, s10, v5
	v_add_co_ci_u32_e32 v9, vcc_lo, s11, v6, vcc_lo
	s_mul_i32 s9, s16, 0xffffe400
	v_add_co_u32 v5, vcc_lo, v0, v11
	v_add_co_ci_u32_e32 v6, vcc_lo, v9, v12, vcc_lo
	s_sub_i32 s8, s8, s16
	v_add_co_u32 v11, vcc_lo, v5, s6
	v_add_co_ci_u32_e32 v12, vcc_lo, s1, v6, vcc_lo
	s_add_i32 s8, s8, s7
	v_mov_b32_e32 v16, v17
	v_add_co_u32 v17, vcc_lo, v11, s9
	v_lshlrev_b64 v[13:14], 3, v[13:14]
	v_add_co_ci_u32_e32 v18, vcc_lo, s8, v12, vcc_lo
	v_add_co_u32 v19, vcc_lo, v17, s6
	s_clause 0x1
	global_load_dwordx2 v[5:6], v[5:6], off
	global_load_dwordx2 v[25:26], v[11:12], off
	v_add_co_ci_u32_e32 v20, vcc_lo, s1, v18, vcc_lo
	v_add_co_u32 v13, vcc_lo, v0, v13
	v_add_co_ci_u32_e32 v14, vcc_lo, v9, v14, vcc_lo
	v_add_co_u32 v21, vcc_lo, v19, s9
	v_add_co_ci_u32_e32 v22, vcc_lo, s8, v20, vcc_lo
	v_lshlrev_b64 v[15:16], 3, v[15:16]
	v_add_co_u32 v23, vcc_lo, v21, s6
	v_add_co_ci_u32_e32 v24, vcc_lo, s1, v22, vcc_lo
	v_lshlrev_b32_e32 v208, 3, v162
	v_add_co_u32 v11, vcc_lo, v23, s9
	v_add_co_ci_u32_e32 v12, vcc_lo, s8, v24, vcc_lo
	s_clause 0x2
	global_load_dwordx2 v[27:28], v[17:18], off
	global_load_dwordx2 v[29:30], v[19:20], off
	;; [unrolled: 1-line block ×5, first 2 shown]
	v_add_co_u32 v11, vcc_lo, v11, s6
	v_add_co_ci_u32_e32 v12, vcc_lo, s1, v12, vcc_lo
	v_add_co_u32 v15, vcc_lo, v0, v15
	v_add_co_ci_u32_e32 v16, vcc_lo, v9, v16, vcc_lo
	;; [unrolled: 2-line block ×3, first 2 shown]
	global_load_dwordx2 v[37:38], v[13:14], off
	global_load_dwordx2 v[99:100], v201, s[12:13]
	global_load_dwordx2 v[39:40], v[15:16], off
	global_load_dwordx2 v[101:102], v208, s[12:13]
	v_add_co_u32 v13, vcc_lo, v17, s6
	v_add_co_ci_u32_e32 v14, vcc_lo, s1, v18, vcc_lo
	global_load_dwordx2 v[41:42], v[11:12], off
	v_add_co_u32 v11, vcc_lo, v13, s9
	v_add_co_ci_u32_e32 v12, vcc_lo, s8, v14, vcc_lo
	v_add_co_u32 v15, vcc_lo, 0x2800, v53
	v_add_co_ci_u32_e32 v16, vcc_lo, 0, v54, vcc_lo
	;; [unrolled: 2-line block ×3, first 2 shown]
	global_load_dwordx2 v[43:44], v[17:18], off
	v_add_co_u32 v17, vcc_lo, v19, s9
	v_add_co_ci_u32_e32 v18, vcc_lo, s8, v20, vcc_lo
	s_clause 0x1
	global_load_dwordx2 v[133:134], v[7:8], off offset:640
	global_load_dwordx2 v[121:122], v[7:8], off offset:1536
	v_add_co_u32 v7, vcc_lo, v17, s6
	v_add_co_ci_u32_e32 v8, vcc_lo, s1, v18, vcc_lo
	global_load_dwordx2 v[45:46], v[13:14], off
	v_add_co_u32 v13, vcc_lo, v7, s9
	v_add_co_ci_u32_e32 v14, vcc_lo, s8, v8, vcc_lo
	s_clause 0x1
	global_load_dwordx2 v[125:126], v[15:16], off offset:512
	global_load_dwordx2 v[119:120], v[15:16], off offset:1408
	global_load_dwordx2 v[47:48], v[11:12], off
	v_add_co_u32 v15, vcc_lo, 0x1000, v53
	v_mad_u64_u32 v[11:12], null, 0x2300, s16, v[13:14]
	v_add_co_ci_u32_e32 v16, vcc_lo, 0, v54, vcc_lo
	v_add_co_u32 v21, vcc_lo, 0x3000, v53
	v_add_co_ci_u32_e32 v22, vcc_lo, 0, v54, vcc_lo
	v_mov_b32_e32 v0, v12
	global_load_dwordx2 v[115:116], v[15:16], off offset:384
	global_load_dwordx2 v[49:50], v[19:20], off
	global_load_dwordx2 v[111:112], v[21:22], off offset:256
	global_load_dwordx2 v[51:52], v[17:18], off
	global_load_dwordx2 v[109:110], v[15:16], off offset:1280
	global_load_dwordx2 v[7:8], v[7:8], off
	global_load_dwordx2 v[107:108], v[21:22], off offset:1152
	v_add_co_u32 v15, vcc_lo, 0x3800, v53
	v_mad_u64_u32 v[17:18], null, 0x2300, s17, v[0:1]
	v_add_co_ci_u32_e32 v16, vcc_lo, 0, v54, vcc_lo
	v_and_b32_e32 v0, 1, v2
	v_and_b32_e32 v9, 1, v163
	v_add_co_u32 v20, null, 0x70, v163
	v_mov_b32_e32 v12, v17
	global_load_dwordx2 v[53:54], v[13:14], off
	s_clause 0x1
	global_load_dwordx2 v[105:106], v[3:4], off offset:128
	global_load_dwordx2 v[103:104], v[15:16], off offset:896
	global_load_dwordx2 v[3:4], v[11:12], off
	v_cmp_eq_u32_e32 vcc_lo, 1, v0
	s_load_dwordx4 s[8:11], s[2:3], 0x0
	v_add_co_u32 v11, null, 0xe0, v163
	v_add_co_u32 v23, null, 0x150, v163
	v_cndmask_b32_e64 v0, 0, 0x7e0, vcc_lo
	v_add_co_u32 v22, null, 0x1c0, v163
	v_add_co_u32 v21, null, 0x230, v163
	v_lshlrev_b32_e32 v218, 3, v0
	v_lshlrev_b32_e32 v0, 1, v163
	;; [unrolled: 1-line block ×3, first 2 shown]
	v_cmp_gt_u16_e32 vcc_lo, 0x60, v10
	s_load_dwordx2 s[2:3], s[4:5], 0x38
	v_add_nc_u32_e32 v164, v218, v1
	v_lshl_add_u32 v187, v163, 4, v218
	v_lshl_add_u32 v182, v20, 4, v218
	;; [unrolled: 1-line block ×4, first 2 shown]
	v_add_nc_u32_e32 v12, 0x2000, v164
	v_add_nc_u32_e32 v14, 0x400, v164
	;; [unrolled: 1-line block ×8, first 2 shown]
	v_lshl_add_u32 v199, v22, 4, v218
	v_lshl_add_u32 v197, v21, 4, v218
	;; [unrolled: 1-line block ×3, first 2 shown]
	v_add_nc_u32_e32 v155, 0x3400, v164
	s_waitcnt vmcnt(29)
	v_mul_f32_e32 v1, v6, v130
	v_mul_f32_e32 v2, v5, v130
	v_fmac_f32_e32 v1, v5, v129
	v_fma_f32 v2, v6, v129, -v2
	s_waitcnt vmcnt(28)
	v_mul_f32_e32 v5, v26, v132
	v_mul_f32_e32 v6, v25, v132
	v_fmac_f32_e32 v5, v25, v131
	v_fma_f32 v6, v26, v131, -v6
	s_waitcnt vmcnt(26)
	v_mul_f32_e32 v26, v30, v124
	v_fmac_f32_e32 v26, v29, v123
	s_waitcnt vmcnt(21)
	v_mul_f32_e32 v55, v38, v100
	v_mul_f32_e32 v56, v37, v100
	s_waitcnt vmcnt(19)
	v_mul_f32_e32 v24, v40, v102
	v_mul_f32_e32 v57, v39, v102
	v_fmac_f32_e32 v55, v37, v99
	v_fma_f32 v56, v38, v99, -v56
	v_mul_f32_e32 v37, v28, v128
	v_mul_f32_e32 v38, v27, v128
	v_fmac_f32_e32 v24, v39, v101
	v_fma_f32 v25, v40, v101, -v57
	v_fmac_f32_e32 v37, v27, v127
	v_fma_f32 v38, v28, v127, -v38
	v_mul_f32_e32 v27, v29, v124
	ds_write_b64 v164, v[5:6] offset:8064
	ds_write2_b64 v164, v[1:2], v[37:38] offset1:112
	v_mul_f32_e32 v1, v32, v118
	v_mul_f32_e32 v2, v31, v118
	ds_write_b64 v164, v[24:25] offset:7168
	v_mul_f32_e32 v5, v34, v114
	v_mul_f32_e32 v6, v33, v114
	v_fma_f32 v27, v30, v123, -v27
	s_waitcnt vmcnt(16)
	v_mul_f32_e32 v24, v36, v134
	v_mul_f32_e32 v25, v35, v134
	v_fmac_f32_e32 v1, v31, v117
	v_fma_f32 v2, v32, v117, -v2
	v_fmac_f32_e32 v5, v33, v113
	v_fma_f32 v6, v34, v113, -v6
	;; [unrolled: 2-line block ×3, first 2 shown]
	s_waitcnt vmcnt(13)
	v_mul_f32_e32 v28, v42, v126
	ds_write2_b64 v12, v[26:27], v[5:6] offset0:96 offset1:208
	v_mul_f32_e32 v29, v41, v126
	ds_write2_b64 v14, v[1:2], v[24:25] offset0:96 offset1:208
	v_mul_f32_e32 v2, v43, v122
	s_waitcnt vmcnt(12)
	v_mul_f32_e32 v25, v45, v120
	v_mul_f32_e32 v1, v46, v120
	;; [unrolled: 1-line block ×3, first 2 shown]
	v_fmac_f32_e32 v28, v41, v125
	v_fma_f32 v6, v44, v121, -v2
	v_fma_f32 v2, v46, v119, -v25
	;; [unrolled: 1-line block ×3, first 2 shown]
	v_fmac_f32_e32 v1, v45, v119
	v_fmac_f32_e32 v5, v43, v121
	s_waitcnt vmcnt(10)
	v_mul_f32_e32 v27, v47, v116
	v_mul_f32_e32 v24, v48, v116
	s_waitcnt vmcnt(4)
	v_mul_f32_e32 v32, v8, v108
	v_mul_f32_e32 v26, v50, v112
	;; [unrolled: 1-line block ×3, first 2 shown]
	v_fma_f32 v25, v48, v115, -v27
	v_mul_f32_e32 v27, v49, v112
	v_mul_f32_e32 v30, v52, v110
	;; [unrolled: 1-line block ×3, first 2 shown]
	v_fmac_f32_e32 v32, v7, v107
	v_fmac_f32_e32 v24, v47, v115
	;; [unrolled: 1-line block ×3, first 2 shown]
	v_fma_f32 v27, v50, v111, -v27
	s_waitcnt vmcnt(2)
	v_mul_f32_e32 v7, v54, v106
	v_mul_f32_e32 v35, v53, v106
	s_waitcnt vmcnt(0)
	v_mul_f32_e32 v34, v4, v104
	v_mul_f32_e32 v36, v3, v104
	v_fma_f32 v33, v8, v107, -v33
	v_fmac_f32_e32 v30, v51, v109
	v_fma_f32 v31, v52, v109, -v31
	v_fmac_f32_e32 v7, v53, v105
	;; [unrolled: 2-line block ×3, first 2 shown]
	v_fma_f32 v35, v4, v103, -v36
	ds_write2_b64 v18, v[28:29], v[1:2] offset0:64 offset1:176
	ds_write2_b64 v15, v[5:6], v[24:25] offset0:64 offset1:176
	;; [unrolled: 1-line block ×4, first 2 shown]
	ds_write2_b64 v17, v[55:56], v[34:35] offset1:112
	s_waitcnt lgkmcnt(0)
	s_barrier
	buffer_gl0_inv
	ds_read2_b64 v[3:6], v164 offset1:112
	ds_read2_b64 v[24:27], v13 offset0:128 offset1:240
	ds_read2_b64 v[28:31], v12 offset0:96 offset1:208
	;; [unrolled: 1-line block ×7, first 2 shown]
	ds_read2_b64 v[52:55], v17 offset1:112
	v_add_nc_u32_e32 v1, 0x540, v0
	v_add_nc_u32_e32 v2, 0x620, v0
	s_waitcnt lgkmcnt(0)
	s_barrier
	buffer_gl0_inv
	v_lshl_add_u32 v198, v1, 3, v218
	v_lshl_add_u32 v196, v2, 3, v218
	v_sub_f32_e32 v56, v3, v26
	v_sub_f32_e32 v57, v4, v27
	;; [unrolled: 1-line block ×18, first 2 shown]
	v_fma_f32 v54, v3, 2.0, -v56
	v_fma_f32 v55, v4, 2.0, -v57
	;; [unrolled: 1-line block ×18, first 2 shown]
	ds_write_b128 v187, v[54:57]
	ds_write_b128 v182, v[5:8]
	;; [unrolled: 1-line block ×9, first 2 shown]
	s_waitcnt lgkmcnt(0)
	s_barrier
	buffer_gl0_inv
	global_load_dwordx2 v[141:142], v70, s[14:15]
	v_lshlrev_b32_e32 v4, 1, v20
	v_lshlrev_b32_e32 v5, 1, v11
	;; [unrolled: 1-line block ×4, first 2 shown]
	v_and_or_b32 v24, 0xfc, v0, v9
	v_lshlrev_b32_e32 v8, 1, v21
	v_and_or_b32 v28, 0x1fc, v4, v9
	v_and_or_b32 v32, 0x3fc, v5, v9
	;; [unrolled: 1-line block ×4, first 2 shown]
	v_lshl_add_u32 v185, v24, 3, v218
	v_and_or_b32 v36, 0x5fc, v8, v9
	v_and_or_b32 v37, 0x7fc, v1, v9
	v_and_or_b32 v38, 0x7fc, v2, v9
	ds_read2_b64 v[24:27], v13 offset0:128 offset1:240
	v_lshl_add_u32 v186, v28, 3, v218
	ds_read2_b64 v[28:31], v12 offset0:96 offset1:208
	v_lshl_add_u32 v181, v32, 3, v218
	v_lshl_add_u32 v177, v33, 3, v218
	;; [unrolled: 1-line block ×3, first 2 shown]
	ds_read2_b64 v[32:35], v18 offset0:64 offset1:176
	v_lshl_add_u32 v171, v36, 3, v218
	v_lshl_add_u32 v169, v37, 3, v218
	v_lshl_add_u32 v167, v38, 3, v218
	ds_read2_b64 v[36:39], v16 offset0:32 offset1:144
	ds_read2_b64 v[40:43], v164 offset1:112
	ds_read2_b64 v[44:47], v14 offset0:96 offset1:208
	ds_read2_b64 v[48:51], v17 offset1:112
	ds_read2_b64 v[52:55], v15 offset0:64 offset1:176
	ds_read2_b64 v[56:59], v19 offset0:32 offset1:144
	v_lshlrev_b32_e32 v3, 1, v162
	v_and_b32_e32 v60, 3, v163
	s_waitcnt vmcnt(0) lgkmcnt(0)
	s_barrier
	buffer_gl0_inv
	v_and_or_b32 v9, 0x7fc, v3, v9
	v_lshlrev_b32_e32 v61, 3, v60
	v_lshl_add_u32 v165, v9, 3, v218
	v_mul_f32_e32 v9, v27, v142
	v_mul_f32_e32 v62, v26, v142
	v_mul_f32_e32 v63, v29, v142
	v_mul_f32_e32 v64, v28, v142
	v_mul_f32_e32 v65, v31, v142
	v_mul_f32_e32 v66, v30, v142
	v_mul_f32_e32 v67, v33, v142
	v_mul_f32_e32 v68, v32, v142
	v_mul_f32_e32 v69, v35, v142
	v_mul_f32_e32 v70, v34, v142
	v_mul_f32_e32 v71, v37, v142
	v_mul_f32_e32 v72, v36, v142
	v_mul_f32_e32 v73, v39, v142
	v_mul_f32_e32 v74, v38, v142
	v_mul_f32_e32 v75, v49, v142
	v_mul_f32_e32 v76, v48, v142
	v_mul_f32_e32 v77, v51, v142
	v_mul_f32_e32 v78, v50, v142
	v_fma_f32 v9, v26, v141, -v9
	v_fmac_f32_e32 v62, v27, v141
	v_fma_f32 v28, v28, v141, -v63
	v_fmac_f32_e32 v64, v29, v141
	;; [unrolled: 2-line block ×9, first 2 shown]
	v_sub_f32_e32 v26, v40, v9
	v_sub_f32_e32 v27, v41, v62
	v_sub_f32_e32 v28, v42, v28
	v_sub_f32_e32 v29, v43, v64
	v_sub_f32_e32 v30, v44, v30
	v_sub_f32_e32 v31, v45, v66
	v_sub_f32_e32 v32, v46, v32
	v_sub_f32_e32 v33, v47, v68
	v_sub_f32_e32 v34, v52, v34
	v_sub_f32_e32 v35, v53, v70
	v_sub_f32_e32 v36, v54, v36
	v_sub_f32_e32 v37, v55, v72
	v_sub_f32_e32 v38, v56, v38
	v_sub_f32_e32 v39, v57, v74
	v_sub_f32_e32 v48, v58, v48
	v_sub_f32_e32 v49, v59, v76
	v_sub_f32_e32 v50, v24, v50
	v_sub_f32_e32 v51, v25, v78
	v_fma_f32 v40, v40, 2.0, -v26
	v_fma_f32 v41, v41, 2.0, -v27
	;; [unrolled: 1-line block ×18, first 2 shown]
	ds_write2_b64 v185, v[40:41], v[26:27] offset1:2
	ds_write2_b64 v186, v[42:43], v[28:29] offset1:2
	;; [unrolled: 1-line block ×9, first 2 shown]
	s_waitcnt lgkmcnt(0)
	s_barrier
	buffer_gl0_inv
	global_load_dwordx2 v[137:138], v61, s[14:15] offset:16
	v_and_or_b32 v32, 0x3f8, v5, v60
	v_and_or_b32 v33, 0x3f8, v6, v60
	;; [unrolled: 1-line block ×5, first 2 shown]
	ds_read2_b64 v[24:27], v13 offset0:128 offset1:240
	ds_read2_b64 v[28:31], v12 offset0:96 offset1:208
	v_and_or_b32 v40, 0x7f8, v2, v60
	v_and_or_b32 v41, 0x7f8, v3, v60
	v_lshl_add_u32 v193, v32, 3, v218
	v_lshl_add_u32 v192, v33, 3, v218
	ds_read2_b64 v[32:35], v18 offset0:64 offset1:176
	v_lshl_add_u32 v189, v36, 3, v218
	v_lshl_add_u32 v184, v37, 3, v218
	;; [unrolled: 1-line block ×3, first 2 shown]
	ds_read2_b64 v[36:39], v16 offset0:32 offset1:144
	v_lshl_add_u32 v176, v40, 3, v218
	v_lshl_add_u32 v173, v41, 3, v218
	ds_read2_b64 v[40:43], v164 offset1:112
	ds_read2_b64 v[44:47], v14 offset0:96 offset1:208
	ds_read2_b64 v[48:51], v17 offset1:112
	ds_read2_b64 v[52:55], v15 offset0:64 offset1:176
	ds_read2_b64 v[56:59], v19 offset0:32 offset1:144
	v_and_or_b32 v9, 0xf8, v0, v60
	v_and_b32_e32 v61, 7, v163
	s_waitcnt vmcnt(0) lgkmcnt(0)
	s_barrier
	buffer_gl0_inv
	v_lshl_add_u32 v166, v9, 3, v218
	v_and_or_b32 v9, 0x1f8, v4, v60
	v_lshlrev_b32_e32 v62, 3, v61
	v_lshl_add_u32 v194, v9, 3, v218
	v_mul_f32_e32 v9, v27, v138
	v_mul_f32_e32 v74, v26, v138
	;; [unrolled: 1-line block ×18, first 2 shown]
	v_fma_f32 v9, v26, v137, -v9
	v_fmac_f32_e32 v74, v27, v137
	v_fma_f32 v28, v28, v137, -v60
	v_fmac_f32_e32 v63, v29, v137
	;; [unrolled: 2-line block ×9, first 2 shown]
	v_sub_f32_e32 v26, v40, v9
	v_sub_f32_e32 v27, v41, v74
	;; [unrolled: 1-line block ×18, first 2 shown]
	v_fma_f32 v40, v40, 2.0, -v26
	v_fma_f32 v41, v41, 2.0, -v27
	;; [unrolled: 1-line block ×18, first 2 shown]
	ds_write2_b64 v166, v[40:41], v[26:27] offset1:4
	ds_write2_b64 v194, v[42:43], v[28:29] offset1:4
	;; [unrolled: 1-line block ×9, first 2 shown]
	s_waitcnt lgkmcnt(0)
	s_barrier
	buffer_gl0_inv
	global_load_dwordx2 v[139:140], v62, s[14:15] offset:48
	v_and_or_b32 v24, 0xf0, v0, v61
	v_and_or_b32 v32, 0x1f0, v4, v61
	v_and_or_b32 v33, 0x3f0, v5, v61
	v_and_or_b32 v34, 0x3f0, v6, v61
	v_and_or_b32 v36, 0x7f0, v7, v61
	v_and_or_b32 v37, 0x5f0, v8, v61
	v_and_or_b32 v38, 0x7f0, v1, v61
	v_lshl_add_u32 v190, v24, 3, v218
	ds_read2_b64 v[24:27], v13 offset0:128 offset1:240
	ds_read2_b64 v[28:31], v12 offset0:96 offset1:208
	v_and_or_b32 v40, 0x7f0, v2, v61
	v_and_or_b32 v41, 0x7f0, v3, v61
	v_lshl_add_u32 v191, v32, 3, v218
	v_lshl_add_u32 v188, v33, 3, v218
	;; [unrolled: 1-line block ×3, first 2 shown]
	ds_read2_b64 v[32:35], v18 offset0:64 offset1:176
	v_lshl_add_u32 v179, v36, 3, v218
	v_lshl_add_u32 v175, v37, 3, v218
	;; [unrolled: 1-line block ×3, first 2 shown]
	ds_read2_b64 v[36:39], v16 offset0:32 offset1:144
	v_lshl_add_u32 v170, v40, 3, v218
	v_lshl_add_u32 v168, v41, 3, v218
	ds_read2_b64 v[40:43], v164 offset1:112
	ds_read2_b64 v[44:47], v14 offset0:96 offset1:208
	ds_read2_b64 v[48:51], v17 offset1:112
	ds_read2_b64 v[52:55], v15 offset0:64 offset1:176
	ds_read2_b64 v[56:59], v19 offset0:32 offset1:144
	v_and_b32_e32 v9, 15, v163
	s_waitcnt vmcnt(0) lgkmcnt(0)
	s_barrier
	buffer_gl0_inv
	v_lshlrev_b32_e32 v60, 3, v9
	v_and_or_b32 v0, 0xe0, v0, v9
	v_and_or_b32 v4, 0x1e0, v4, v9
	;; [unrolled: 1-line block ×5, first 2 shown]
	v_lshl_add_u32 v212, v0, 3, v218
	v_lshl_add_u32 v213, v4, 3, v218
	;; [unrolled: 1-line block ×5, first 2 shown]
	v_mul_f32_e32 v61, v27, v140
	v_mul_f32_e32 v74, v26, v140
	;; [unrolled: 1-line block ×18, first 2 shown]
	v_fma_f32 v26, v26, v139, -v61
	v_fmac_f32_e32 v74, v27, v139
	v_fma_f32 v28, v28, v139, -v62
	v_fmac_f32_e32 v63, v29, v139
	;; [unrolled: 2-line block ×9, first 2 shown]
	v_sub_f32_e32 v26, v40, v26
	v_sub_f32_e32 v27, v41, v74
	;; [unrolled: 1-line block ×18, first 2 shown]
	v_fma_f32 v40, v40, 2.0, -v26
	v_fma_f32 v41, v41, 2.0, -v27
	;; [unrolled: 1-line block ×18, first 2 shown]
	ds_write2_b64 v190, v[40:41], v[26:27] offset1:8
	ds_write2_b64 v191, v[42:43], v[28:29] offset1:8
	ds_write2_b64 v188, v[44:45], v[30:31] offset1:8
	ds_write2_b64 v183, v[46:47], v[32:33] offset1:8
	ds_write2_b64 v179, v[52:53], v[34:35] offset1:8
	ds_write2_b64 v175, v[54:55], v[36:37] offset1:8
	ds_write2_b64 v172, v[56:57], v[38:39] offset1:8
	ds_write2_b64 v170, v[58:59], v[48:49] offset1:8
	ds_write2_b64 v168, v[24:25], v[50:51] offset1:8
	s_waitcnt lgkmcnt(0)
	s_barrier
	buffer_gl0_inv
	global_load_dwordx2 v[135:136], v60, s[14:15] offset:112
	v_and_or_b32 v27, 0x7e0, v7, v9
	v_and_or_b32 v28, 0x7e0, v1, v9
	;; [unrolled: 1-line block ×4, first 2 shown]
	ds_read2_b64 v[0:3], v12 offset0:96 offset1:208
	ds_read2_b64 v[4:7], v18 offset0:64 offset1:176
	v_lshl_add_u32 v209, v27, 3, v218
	v_lshl_add_u32 v206, v28, 3, v218
	ds_read2_b64 v[27:30], v16 offset0:32 offset1:144
	v_lshl_add_u32 v205, v31, 3, v218
	ds_read2_b64 v[31:34], v13 offset0:128 offset1:240
	ds_read2_b64 v[35:38], v17 offset1:112
	ds_read2_b64 v[39:42], v164 offset1:112
	ds_read2_b64 v[43:46], v14 offset0:96 offset1:208
	ds_read2_b64 v[47:50], v15 offset0:64 offset1:176
	ds_read2_b64 v[51:54], v19 offset0:32 offset1:144
	v_lshl_add_u32 v204, v9, 3, v218
	v_and_b32_e32 v24, 31, v163
	v_and_b32_e32 v25, 31, v21
	;; [unrolled: 1-line block ×3, first 2 shown]
	s_waitcnt vmcnt(0) lgkmcnt(0)
	s_barrier
	v_lshlrev_b32_e32 v55, 4, v24
	buffer_gl0_inv
	v_lshlrev_b32_e32 v56, 4, v25
	v_mul_f32_e32 v8, v1, v136
	v_mul_f32_e32 v71, v34, v136
	;; [unrolled: 1-line block ×18, first 2 shown]
	v_fma_f32 v8, v0, v135, -v8
	v_fma_f32 v0, v33, v135, -v71
	v_fmac_f32_e32 v72, v34, v135
	v_fmac_f32_e32 v9, v1, v135
	v_fma_f32 v57, v2, v135, -v57
	v_fmac_f32_e32 v58, v3, v135
	v_fma_f32 v59, v4, v135, -v59
	;; [unrolled: 2-line block ×7, first 2 shown]
	v_fmac_f32_e32 v70, v38, v135
	v_sub_f32_e32 v0, v39, v0
	v_sub_f32_e32 v1, v40, v72
	;; [unrolled: 1-line block ×18, first 2 shown]
	v_fma_f32 v37, v39, 2.0, -v0
	v_fma_f32 v38, v40, 2.0, -v1
	;; [unrolled: 1-line block ×18, first 2 shown]
	ds_write2_b64 v212, v[37:38], v[0:1] offset1:16
	ds_write2_b64 v213, v[39:40], v[2:3] offset1:16
	;; [unrolled: 1-line block ×9, first 2 shown]
	v_and_b32_e32 v27, 31, v20
	v_lshlrev_b32_e32 v4, 4, v26
	s_waitcnt lgkmcnt(0)
	s_barrier
	buffer_gl0_inv
	s_clause 0x1
	global_load_dwordx4 v[0:3], v55, s[14:15] offset:240
	global_load_dwordx2 v[143:144], v56, s[14:15] offset:240
	v_lshlrev_b32_e32 v8, 4, v27
	s_clause 0x3
	global_load_dwordx2 v[147:148], v56, s[14:15] offset:248
	global_load_dwordx4 v[4:7], v4, s[14:15] offset:240
	global_load_dword v203, v56, s[14:15] offset:252
	global_load_dwordx2 v[145:146], v56, s[14:15] offset:244
	v_add_co_u32 v9, s0, 0xffffffa0, v163
	global_load_dword v202, v8, s[14:15] offset:240
	v_mov_b32_e32 v28, 0xaaab
	v_lshrrev_b32_e32 v8, 5, v163
	v_add_co_ci_u32_e64 v29, null, 0, -1, s0
	v_lshrrev_b32_e32 v32, 5, v20
	v_lshrrev_b32_e32 v33, 5, v11
	v_mul_u32_u24_e32 v31, 0x60, v8
	v_lshrrev_b32_e32 v34, 5, v23
	v_cndmask_b32_e32 v8, v9, v163, vcc_lo
	v_mul_u32_u24_sdwa v38, v23, v28 dst_sel:DWORD dst_unused:UNUSED_PAD src0_sel:WORD_0 src1_sel:DWORD
	v_mul_u32_u24_sdwa v39, v11, v28 dst_sel:DWORD dst_unused:UNUSED_PAD src0_sel:WORD_0 src1_sel:DWORD
	v_cndmask_b32_e64 v9, v29, 0, vcc_lo
	v_mul_u32_u24_sdwa v40, v22, v28 dst_sel:DWORD dst_unused:UNUSED_PAD src0_sel:WORD_0 src1_sel:DWORD
	v_lshrrev_b32_e32 v35, 5, v22
	v_and_b32_e32 v37, 0xff, v20
	v_mul_u32_u24_sdwa v41, v21, v28 dst_sel:DWORD dst_unused:UNUSED_PAD src0_sel:WORD_0 src1_sel:DWORD
	v_lshrrev_b32_e32 v36, 5, v21
	v_or_b32_e32 v31, v31, v24
	v_mul_u32_u24_e32 v32, 0x60, v32
	v_mul_u32_u24_e32 v33, 0x60, v33
	;; [unrolled: 1-line block ×3, first 2 shown]
	v_lshrrev_b32_e32 v44, 22, v38
	v_lshrrev_b32_e32 v45, 22, v39
	v_lshlrev_b64 v[28:29], 4, v[8:9]
	v_lshrrev_b32_e32 v9, 22, v40
	v_mul_u32_u24_e32 v35, 0x60, v35
	v_mul_lo_u16 v37, 0xab, v37
	v_lshrrev_b32_e32 v46, 22, v41
	v_mul_u32_u24_e32 v36, 0x60, v36
	v_lshl_add_u32 v220, v31, 3, v218
	v_or_b32_e32 v27, v32, v27
	v_or_b32_e32 v31, v33, v24
	;; [unrolled: 1-line block ×3, first 2 shown]
	v_mul_lo_u16 v32, 0x60, v44
	v_mul_lo_u16 v33, 0x60, v45
	;; [unrolled: 1-line block ×3, first 2 shown]
	v_or_b32_e32 v24, v35, v24
	v_lshrrev_b16 v47, 14, v37
	v_mul_lo_u16 v35, 0x60, v46
	v_or_b32_e32 v25, v36, v25
	v_sub_nc_u16 v48, v23, v32
	v_sub_nc_u16 v49, v11, v33
	;; [unrolled: 1-line block ×3, first 2 shown]
	v_add_co_u32 v65, vcc_lo, s14, v28
	v_mul_lo_u16 v28, 0x60, v47
	v_sub_nc_u16 v52, v21, v35
	v_lshl_add_u32 v216, v26, 3, v218
	v_lshl_add_u32 v215, v24, 3, v218
	;; [unrolled: 1-line block ×3, first 2 shown]
	v_lshlrev_b16 v24, 4, v49
	v_lshlrev_b16 v25, 4, v48
	;; [unrolled: 1-line block ×3, first 2 shown]
	v_mov_b32_e32 v30, 4
	v_sub_nc_u16 v51, v20, v28
	v_lshlrev_b16 v28, 4, v52
	v_lshl_add_u32 v226, v27, 3, v218
	ds_read2_b64 v[20:23], v19 offset0:32 offset1:144
	v_and_b32_e32 v32, 0xffff, v24
	v_and_b32_e32 v70, 0xffff, v25
	v_and_b32_e32 v71, 0xffff, v26
	ds_read2_b64 v[24:27], v18 offset0:64 offset1:176
	v_add_co_ci_u32_e32 v66, vcc_lo, s15, v29, vcc_lo
	v_lshl_add_u32 v221, v31, 3, v218
	v_lshlrev_b32_sdwa v69, v30, v51 dst_sel:DWORD dst_unused:UNUSED_PAD src0_sel:DWORD src1_sel:BYTE_0
	v_and_b32_e32 v72, 0xffff, v28
	ds_read2_b64 v[28:31], v13 offset0:128 offset1:240
	v_add_co_u32 v67, s0, s14, v32
	ds_read2_b64 v[32:35], v16 offset0:32 offset1:144
	ds_read2_b64 v[36:39], v12 offset0:96 offset1:208
	ds_read2_b64 v[40:43], v17 offset1:112
	ds_read2_b64 v[53:56], v164 offset1:112
	ds_read2_b64 v[57:60], v14 offset0:96 offset1:208
	ds_read2_b64 v[61:64], v15 offset0:64 offset1:176
	v_add_co_ci_u32_e64 v68, null, s15, 0, s0
	s_waitcnt vmcnt(0) lgkmcnt(0)
	s_barrier
	buffer_gl0_inv
	v_cmp_lt_u16_e32 vcc_lo, 0x5f, v10
	v_mad_u16 v45, 0x120, v45, v49
	v_mad_u16 v48, 0x120, v44, v48
	;; [unrolled: 1-line block ×4, first 2 shown]
	v_and_b32_e32 v52, 0xffff, v45
	v_and_b32_e32 v9, 0xffff, v9
	v_lshl_add_u32 v223, v52, 3, v218
	v_lshl_add_u32 v219, v9, 3, v218
	v_mul_f32_e32 v73, v21, v1
	v_mul_f32_e32 v74, v20, v1
	;; [unrolled: 1-line block ×24, first 2 shown]
	v_fma_f32 v20, v20, v0, -v73
	v_fmac_f32_e32 v74, v21, v0
	v_fma_f32 v21, v22, v202, -v75
	v_fma_f32 v22, v24, v2, -v77
	v_fmac_f32_e32 v78, v25, v2
	v_fmac_f32_e32 v76, v23, v202
	v_fma_f32 v24, v26, v146, -v79
	v_fmac_f32_e32 v80, v27, v146
	v_fma_f32 v23, v28, v0, -v81
	;; [unrolled: 2-line block ×9, first 2 shown]
	v_fmac_f32_e32 v96, v43, v147
	v_add_f32_e32 v31, v20, v22
	v_add_f32_e32 v33, v74, v78
	;; [unrolled: 1-line block ×8, first 2 shown]
	v_sub_f32_e32 v40, v74, v78
	v_sub_f32_e32 v41, v20, v22
	v_add_f32_e32 v38, v55, v21
	v_add_f32_e32 v39, v56, v76
	v_sub_f32_e32 v43, v21, v24
	v_add_f32_e32 v83, v84, v88
	v_add_f32_e32 v85, v25, v28
	v_add_f32_e32 v89, v62, v90
	v_sub_f32_e32 v91, v90, v94
	v_add_f32_e32 v90, v90, v94
	;; [unrolled: 4-line block ×3, first 2 shown]
	v_add_f32_e32 v152, v29, v32
	v_fma_f32 v20, -0.5, v31, v53
	v_fma_f32 v21, -0.5, v33, v54
	v_sub_f32_e32 v42, v76, v80
	v_fma_f32 v55, -0.5, v36, v55
	v_fmac_f32_e32 v56, -0.5, v37
	v_add_f32_e32 v73, v58, v82
	v_sub_f32_e32 v74, v82, v86
	v_add_f32_e32 v76, v57, v23
	v_sub_f32_e32 v79, v23, v26
	v_add_f32_e32 v23, v34, v78
	v_add_f32_e32 v22, v35, v22
	v_fma_f32 v34, -0.5, v77, v57
	v_fma_f32 v35, -0.5, v75, v58
	v_add_f32_e32 v81, v60, v84
	v_sub_f32_e32 v82, v84, v88
	v_add_f32_e32 v84, v59, v25
	v_sub_f32_e32 v87, v25, v28
	v_add_f32_e32 v93, v61, v27
	v_add_f32_e32 v149, v63, v29
	v_sub_f32_e32 v150, v27, v30
	v_sub_f32_e32 v153, v29, v32
	v_add_f32_e32 v25, v39, v80
	v_add_f32_e32 v24, v38, v24
	v_fma_f32 v59, -0.5, v85, v59
	v_fmac_f32_e32 v60, -0.5, v83
	v_fma_f32 v36, -0.5, v95, v61
	v_fma_f32 v37, -0.5, v90, v62
	;; [unrolled: 1-line block ×3, first 2 shown]
	v_fmac_f32_e32 v64, -0.5, v92
	v_fmamk_f32 v38, v40, 0x3f5db3d7, v20
	v_fmamk_f32 v39, v41, 0xbf5db3d7, v21
	v_fmac_f32_e32 v20, 0xbf5db3d7, v40
	v_fmac_f32_e32 v21, 0x3f5db3d7, v41
	v_fmamk_f32 v40, v42, 0x3f5db3d7, v55
	v_fmamk_f32 v41, v43, 0xbf5db3d7, v56
	v_fmac_f32_e32 v55, 0xbf5db3d7, v42
	v_fmac_f32_e32 v56, 0x3f5db3d7, v43
	v_add_f32_e32 v27, v73, v86
	v_add_f32_e32 v26, v76, v26
	v_fmamk_f32 v42, v74, 0x3f5db3d7, v34
	v_fmamk_f32 v43, v79, 0xbf5db3d7, v35
	v_add_f32_e32 v29, v81, v88
	v_add_f32_e32 v28, v84, v28
	;; [unrolled: 1-line block ×6, first 2 shown]
	v_fmac_f32_e32 v34, 0xbf5db3d7, v74
	v_fmac_f32_e32 v35, 0x3f5db3d7, v79
	v_fmamk_f32 v53, v82, 0x3f5db3d7, v59
	v_fmamk_f32 v54, v87, 0xbf5db3d7, v60
	v_fmac_f32_e32 v59, 0xbf5db3d7, v82
	v_fmac_f32_e32 v60, 0x3f5db3d7, v87
	v_fmamk_f32 v57, v91, 0x3f5db3d7, v36
	v_fmamk_f32 v58, v150, 0xbf5db3d7, v37
	;; [unrolled: 4-line block ×3, first 2 shown]
	v_fmac_f32_e32 v63, 0xbf5db3d7, v151
	v_fmac_f32_e32 v64, 0x3f5db3d7, v153
	ds_write2_b64 v220, v[22:23], v[38:39] offset1:32
	ds_write_b64 v220, v[20:21] offset:512
	ds_write2_b64 v226, v[24:25], v[40:41] offset1:32
	ds_write_b64 v226, v[55:56] offset:512
	ds_write2_b64 v221, v[26:27], v[42:43] offset1:32
	ds_write_b64 v221, v[34:35] offset:512
	ds_write2_b64 v216, v[28:29], v[53:54] offset1:32
	ds_write_b64 v216, v[59:60] offset:512
	ds_write2_b64 v215, v[30:31], v[57:58] offset1:32
	ds_write_b64 v215, v[36:37] offset:512
	ds_write2_b64 v214, v[32:33], v[61:62] offset1:32
	ds_write_b64 v214, v[63:64] offset:512
	v_add_co_u32 v20, s0, s14, v70
	v_add_co_ci_u32_e64 v21, null, s15, 0, s0
	v_add_co_u32 v22, s0, s14, v71
	s_waitcnt lgkmcnt(0)
	s_barrier
	buffer_gl0_inv
	s_clause 0x1
	global_load_dwordx4 v[40:43], v[65:66], off offset:752
	global_load_dwordx4 v[36:39], v69, s[14:15] offset:752
	v_add_co_ci_u32_e64 v23, null, s15, 0, s0
	s_clause 0x1
	global_load_dwordx4 v[32:35], v[67:68], off offset:752
	global_load_dwordx4 v[28:31], v[20:21], off offset:752
	v_add_co_u32 v20, s0, s14, v72
	v_add_co_ci_u32_e64 v21, null, s15, 0, s0
	s_clause 0x1
	global_load_dwordx4 v[24:27], v[22:23], off offset:752
	global_load_dwordx4 v[20:23], v[20:21], off offset:752
	v_cndmask_b32_e64 v53, 0, 0x120, vcc_lo
	v_mov_b32_e32 v54, 0x120
	v_and_b32_e32 v56, 0xffff, v49
	v_add_nc_u32_e32 v64, 0x800, v164
	v_add_nc_u32_e32 v65, 0x1000, v164
	;; [unrolled: 1-line block ×4, first 2 shown]
	v_lshl_add_u32 v217, v56, 3, v218
	v_cmp_gt_u16_e32 vcc_lo, 64, v10
	v_lshl_add_u32 v224, v8, 3, v218
	v_mul_u32_u24_sdwa v8, v47, v54 dst_sel:DWORD dst_unused:UNUSED_PAD src0_sel:WORD_0 src1_sel:DWORD
	ds_read2_b64 v[44:47], v19 offset0:32 offset1:144
	v_and_b32_e32 v19, 0xffff, v48
	ds_read2_b64 v[52:55], v13 offset0:128 offset1:240
	v_add_nc_u32_sdwa v8, v8, v51 dst_sel:DWORD dst_unused:UNUSED_PAD src0_sel:DWORD src1_sel:BYTE_0
	ds_read2_b64 v[48:51], v18 offset0:64 offset1:176
	v_lshl_add_u32 v222, v19, 3, v218
	ds_read2_b64 v[56:59], v16 offset0:32 offset1:144
	ds_read2_b64 v[60:63], v12 offset0:96 offset1:208
	ds_read2_b64 v[16:19], v17 offset1:112
	ds_read2_b64 v[70:73], v164 offset1:112
	ds_read2_b64 v[74:77], v14 offset0:96 offset1:208
	ds_read2_b64 v[66:69], v15 offset0:64 offset1:176
	s_waitcnt vmcnt(0) lgkmcnt(0)
	v_lshl_add_u32 v225, v8, 3, v218
	s_barrier
	buffer_gl0_inv
	v_mul_f32_e32 v8, v45, v41
	v_mul_f32_e32 v9, v44, v41
	;; [unrolled: 1-line block ×24, first 2 shown]
	v_fma_f32 v8, v44, v40, -v8
	v_fmac_f32_e32 v9, v45, v40
	v_fma_f32 v44, v48, v42, -v79
	v_fmac_f32_e32 v80, v49, v42
	v_fma_f32 v14, v46, v36, -v14
	v_fmac_f32_e32 v15, v47, v36
	v_fma_f32 v45, v50, v38, -v81
	v_fmac_f32_e32 v82, v51, v38
	v_fma_f32 v46, v52, v32, -v83
	v_fmac_f32_e32 v84, v53, v32
	v_fma_f32 v47, v54, v28, -v85
	v_fmac_f32_e32 v86, v55, v28
	v_fma_f32 v48, v56, v34, -v87
	v_fmac_f32_e32 v88, v57, v34
	v_fma_f32 v49, v58, v30, -v89
	v_fmac_f32_e32 v90, v59, v30
	v_fma_f32 v50, v60, v24, -v91
	v_fmac_f32_e32 v92, v61, v24
	v_fma_f32 v51, v62, v20, -v93
	v_fmac_f32_e32 v94, v63, v20
	v_fma_f32 v52, v16, v26, -v95
	v_fmac_f32_e32 v96, v17, v26
	v_fma_f32 v53, v18, v22, -v97
	v_fmac_f32_e32 v151, v19, v22
	v_add_f32_e32 v17, v9, v80
	v_add_f32_e32 v19, v8, v44
	;; [unrolled: 1-line block ×8, first 2 shown]
	v_sub_f32_e32 v63, v84, v88
	v_add_f32_e32 v79, v84, v88
	v_add_f32_e32 v81, v74, v46
	;; [unrolled: 1-line block ×3, first 2 shown]
	v_sub_f32_e32 v84, v46, v48
	v_add_f32_e32 v46, v47, v49
	v_add_f32_e32 v85, v86, v90
	v_sub_f32_e32 v54, v9, v80
	v_sub_f32_e32 v55, v8, v44
	v_add_f32_e32 v56, v73, v15
	v_sub_f32_e32 v57, v15, v82
	v_sub_f32_e32 v61, v14, v45
	v_add_f32_e32 v93, v67, v92
	v_sub_f32_e32 v95, v92, v96
	v_add_f32_e32 v92, v92, v96
	v_add_f32_e32 v97, v66, v50
	;; [unrolled: 1-line block ×3, first 2 shown]
	v_sub_f32_e32 v153, v50, v52
	v_add_f32_e32 v50, v69, v94
	v_sub_f32_e32 v154, v94, v151
	v_add_f32_e32 v157, v51, v53
	v_add_f32_e32 v94, v94, v151
	v_fma_f32 v14, -0.5, v19, v70
	v_fma_f32 v15, -0.5, v17, v71
	v_add_f32_e32 v156, v68, v51
	v_fma_f32 v72, -0.5, v60, v72
	v_fmac_f32_e32 v73, -0.5, v58
	v_add_f32_e32 v87, v77, v86
	v_add_f32_e32 v89, v76, v47
	v_sub_f32_e32 v86, v86, v90
	v_sub_f32_e32 v91, v47, v49
	v_add_f32_e32 v9, v16, v80
	v_add_f32_e32 v8, v18, v44
	;; [unrolled: 1-line block ×3, first 2 shown]
	v_fma_f32 v44, -0.5, v83, v74
	v_fma_f32 v45, -0.5, v79, v75
	;; [unrolled: 1-line block ×3, first 2 shown]
	v_fmac_f32_e32 v77, -0.5, v85
	v_sub_f32_e32 v158, v51, v53
	v_fma_f32 v149, -0.5, v149, v66
	v_fma_f32 v150, -0.5, v92, v67
	v_add_f32_e32 v152, v50, v151
	v_fma_f32 v68, -0.5, v157, v68
	v_fmac_f32_e32 v69, -0.5, v94
	v_fmamk_f32 v50, v54, 0x3f5db3d7, v14
	v_fmamk_f32 v51, v55, 0xbf5db3d7, v15
	v_fmac_f32_e32 v14, 0xbf5db3d7, v54
	v_fmac_f32_e32 v15, 0x3f5db3d7, v55
	v_add_f32_e32 v17, v56, v82
	v_add_f32_e32 v18, v81, v48
	;; [unrolled: 1-line block ×4, first 2 shown]
	v_fmamk_f32 v52, v57, 0x3f5db3d7, v72
	v_fmamk_f32 v53, v61, 0xbf5db3d7, v73
	v_fmac_f32_e32 v72, 0xbf5db3d7, v57
	v_fmac_f32_e32 v73, 0x3f5db3d7, v61
	v_add_f32_e32 v19, v62, v88
	v_fmamk_f32 v54, v63, 0x3f5db3d7, v44
	v_fmamk_f32 v55, v84, 0xbf5db3d7, v45
	;; [unrolled: 1-line block ×4, first 2 shown]
	v_fmac_f32_e32 v76, 0xbf5db3d7, v86
	v_fmac_f32_e32 v77, 0x3f5db3d7, v91
	v_add_f32_e32 v47, v87, v90
	v_add_f32_e32 v46, v89, v49
	;; [unrolled: 1-line block ×3, first 2 shown]
	v_fmac_f32_e32 v44, 0xbf5db3d7, v63
	v_fmac_f32_e32 v45, 0x3f5db3d7, v84
	v_fmamk_f32 v58, v95, 0x3f5db3d7, v149
	v_fmamk_f32 v59, v153, 0xbf5db3d7, v150
	v_fmac_f32_e32 v149, 0xbf5db3d7, v95
	v_fmac_f32_e32 v150, 0x3f5db3d7, v153
	v_fmamk_f32 v153, v154, 0x3f5db3d7, v68
	v_fmac_f32_e32 v68, 0xbf5db3d7, v154
	v_fmamk_f32 v154, v158, 0xbf5db3d7, v69
	v_fmac_f32_e32 v69, 0x3f5db3d7, v158
	ds_write2_b64 v224, v[8:9], v[50:51] offset1:96
	ds_write_b64 v224, v[14:15] offset:1536
	ds_write2_b64 v225, v[16:17], v[52:53] offset1:96
	ds_write_b64 v225, v[72:73] offset:1536
	;; [unrolled: 2-line block ×6, first 2 shown]
	s_waitcnt lgkmcnt(0)
	s_barrier
	buffer_gl0_inv
	ds_read2_b64 v[94:97], v64 offset0:32 offset1:144
	ds_read2_b64 v[90:93], v65 offset0:64 offset1:176
	;; [unrolled: 1-line block ×6, first 2 shown]
	ds_read2_b64 v[70:73], v164 offset1:112
                                        ; implicit-def: $vgpr155
                                        ; implicit-def: $vgpr157
	s_and_saveexec_b32 s0, vcc_lo
	s_cbranch_execz .LBB0_3
; %bb.2:
	ds_read_b64 v[149:150], v164 offset:1792
	ds_read_b64 v[151:152], v164 offset:4096
	;; [unrolled: 1-line block ×7, first 2 shown]
.LBB0_3:
	s_or_b32 exec_lo, exec_lo, s0
	v_mad_u64_u32 v[8:9], null, v163, 48, s[14:15]
	v_lshl_add_u32 v218, v163, 3, v218
	v_add_co_u32 v12, s0, 0x800, v8
	v_add_co_ci_u32_e64 v13, s0, 0, v9, s0
	v_add_co_u32 v14, s0, 0x8f0, v8
	v_add_co_ci_u32_e64 v15, s0, 0, v9, s0
	s_clause 0x2
	global_load_dwordx4 v[64:67], v[12:13], off offset:240
	global_load_dwordx4 v[44:47], v[14:15], off offset:32
	;; [unrolled: 1-line block ×3, first 2 shown]
	v_add_co_u32 v12, s0, 0x1800, v8
	v_add_co_ci_u32_e64 v13, s0, 0, v9, s0
	v_add_co_u32 v8, s0, 0x1df0, v8
	v_add_co_ci_u32_e64 v9, s0, 0, v9, s0
	s_clause 0x2
	global_load_dwordx4 v[60:63], v[12:13], off offset:1520
	global_load_dwordx4 v[52:55], v[8:9], off offset:16
	;; [unrolled: 1-line block ×3, first 2 shown]
	v_subrev_nc_u32_e32 v8, 64, v163
	v_cndmask_b32_e32 v8, v8, v11, vcc_lo
	v_mul_i32_i24_e32 v9, 48, v8
	v_mul_hi_i32_i24_e32 v8, 48, v8
	v_add_co_u32 v10, s0, s14, v9
	v_add_co_ci_u32_e64 v11, s0, s15, v8, s0
	v_add_co_u32 v8, s0, 0x800, v10
	v_add_co_ci_u32_e64 v9, s0, 0, v11, s0
	;; [unrolled: 2-line block ×3, first 2 shown]
	s_clause 0x2
	global_load_dwordx4 v[12:15], v[8:9], off offset:240
	global_load_dwordx4 v[8:11], v[16:17], off offset:16
	;; [unrolled: 1-line block ×3, first 2 shown]
	s_waitcnt vmcnt(8) lgkmcnt(6)
	v_mul_f32_e32 v227, v95, v65
	v_mul_f32_e32 v228, v94, v65
	s_waitcnt lgkmcnt(5)
	v_mul_f32_e32 v229, v91, v67
	v_mul_f32_e32 v230, v90, v67
	s_waitcnt vmcnt(6) lgkmcnt(4)
	v_mul_f32_e32 v231, v87, v57
	v_mul_f32_e32 v232, v86, v57
	s_waitcnt lgkmcnt(3)
	v_mul_f32_e32 v233, v83, v59
	v_mul_f32_e32 v234, v82, v59
	s_waitcnt lgkmcnt(2)
	;; [unrolled: 3-line block ×3, first 2 shown]
	v_mul_f32_e32 v237, v75, v47
	v_mul_f32_e32 v238, v74, v47
	s_waitcnt vmcnt(5)
	v_mul_f32_e32 v239, v97, v61
	v_mul_f32_e32 v240, v96, v61
	v_mul_f32_e32 v241, v93, v63
	v_mul_f32_e32 v242, v92, v63
	s_waitcnt vmcnt(4)
	v_mul_f32_e32 v243, v89, v53
	v_mul_f32_e32 v244, v88, v53
	;; [unrolled: 5-line block ×3, first 2 shown]
	v_mul_f32_e32 v249, v77, v51
	v_mul_f32_e32 v250, v76, v51
	v_fma_f32 v94, v94, v64, -v227
	v_fmac_f32_e32 v228, v95, v64
	v_fma_f32 v90, v90, v66, -v229
	v_fmac_f32_e32 v230, v91, v66
	;; [unrolled: 2-line block ×12, first 2 shown]
	v_add_f32_e32 v77, v94, v74
	v_add_f32_e32 v81, v228, v238
	v_sub_f32_e32 v74, v94, v74
	v_sub_f32_e32 v85, v228, v238
	v_add_f32_e32 v87, v90, v78
	v_add_f32_e32 v88, v230, v236
	v_sub_f32_e32 v78, v90, v78
	v_sub_f32_e32 v89, v230, v236
	v_add_f32_e32 v90, v86, v82
	v_sub_f32_e32 v82, v82, v86
	v_sub_f32_e32 v86, v234, v232
	v_add_f32_e32 v92, v75, v76
	v_add_f32_e32 v93, v240, v250
	;; [unrolled: 1-line block ×4, first 2 shown]
	v_sub_f32_e32 v79, v79, v80
	v_sub_f32_e32 v80, v242, v248
	v_add_f32_e32 v96, v83, v84
	v_add_f32_e32 v97, v244, v246
	v_sub_f32_e32 v83, v84, v83
	v_sub_f32_e32 v84, v246, v244
	s_waitcnt vmcnt(2)
	v_mul_f32_e32 v227, v152, v13
	v_mul_f32_e32 v228, v151, v13
	;; [unrolled: 1-line block ×4, first 2 shown]
	s_waitcnt vmcnt(0)
	v_mul_f32_e32 v235, v156, v17
	v_mul_f32_e32 v236, v155, v17
	s_waitcnt lgkmcnt(0)
	v_mul_f32_e32 v237, v160, v19
	v_mul_f32_e32 v238, v159, v19
	v_add_f32_e32 v91, v232, v234
	v_sub_f32_e32 v75, v75, v76
	v_sub_f32_e32 v76, v240, v250
	v_mul_f32_e32 v231, v69, v9
	v_mul_f32_e32 v232, v68, v9
	v_mul_f32_e32 v233, v158, v11
	v_mul_f32_e32 v234, v157, v11
	v_add_f32_e32 v239, v87, v77
	v_add_f32_e32 v240, v88, v81
	v_sub_f32_e32 v241, v87, v77
	v_sub_f32_e32 v77, v77, v90
	;; [unrolled: 1-line block ×3, first 2 shown]
	v_add_f32_e32 v243, v82, v78
	v_add_f32_e32 v244, v86, v89
	v_sub_f32_e32 v245, v82, v78
	v_sub_f32_e32 v246, v86, v89
	;; [unrolled: 1-line block ×4, first 2 shown]
	v_add_f32_e32 v247, v94, v92
	v_add_f32_e32 v248, v95, v93
	v_sub_f32_e32 v250, v95, v93
	v_sub_f32_e32 v95, v97, v95
	;; [unrolled: 1-line block ×4, first 2 shown]
	v_fma_f32 v151, v151, v12, -v227
	v_fmac_f32_e32 v228, v152, v12
	v_fma_f32 v152, v153, v14, -v229
	v_fmac_f32_e32 v230, v154, v14
	;; [unrolled: 2-line block ×4, first 2 shown]
	v_sub_f32_e32 v242, v88, v81
	v_sub_f32_e32 v81, v81, v91
	;; [unrolled: 1-line block ×9, first 2 shown]
	v_add_f32_e32 v251, v83, v79
	v_add_f32_e32 v252, v84, v80
	v_sub_f32_e32 v83, v75, v83
	v_sub_f32_e32 v79, v79, v75
	;; [unrolled: 1-line block ×3, first 2 shown]
	v_fma_f32 v68, v68, v8, -v231
	v_fmac_f32_e32 v232, v69, v8
	v_fma_f32 v69, v157, v10, -v233
	v_fmac_f32_e32 v234, v158, v10
	v_add_f32_e32 v90, v90, v239
	v_add_f32_e32 v91, v91, v240
	v_mul_f32_e32 v77, 0x3f4a47b2, v77
	v_mul_f32_e32 v155, 0x3d64c772, v87
	;; [unrolled: 1-line block ×6, first 2 shown]
	v_add_f32_e32 v96, v96, v247
	v_add_f32_e32 v97, v97, v248
	v_mul_f32_e32 v229, 0x3d64c772, v95
	v_mul_f32_e32 v231, 0xbf08b237, v253
	;; [unrolled: 1-line block ×3, first 2 shown]
	v_add_f32_e32 v239, v151, v154
	v_add_f32_e32 v240, v228, v238
	v_sub_f32_e32 v151, v151, v154
	v_sub_f32_e32 v154, v228, v238
	v_add_f32_e32 v228, v152, v153
	v_add_f32_e32 v238, v230, v236
	v_sub_f32_e32 v84, v76, v84
	v_add_f32_e32 v74, v243, v74
	v_add_f32_e32 v85, v244, v85
	v_mul_f32_e32 v81, 0x3f4a47b2, v81
	v_mul_f32_e32 v156, 0x3d64c772, v88
	;; [unrolled: 1-line block ×7, first 2 shown]
	v_sub_f32_e32 v152, v152, v153
	v_sub_f32_e32 v153, v230, v236
	v_add_f32_e32 v230, v68, v69
	v_add_f32_e32 v236, v232, v234
	v_sub_f32_e32 v243, v69, v68
	v_sub_f32_e32 v232, v234, v232
	v_add_f32_e32 v68, v70, v90
	v_add_f32_e32 v69, v71, v91
	v_fmamk_f32 v87, v87, 0x3d64c772, v77
	v_fma_f32 v155, 0x3f3bfb3b, v241, -v155
	v_fma_f32 v77, 0xbf3bfb3b, v241, -v77
	v_fmamk_f32 v234, v82, 0x3eae86e6, v157
	v_fmamk_f32 v241, v86, 0x3eae86e6, v158
	v_fma_f32 v157, 0x3f5ff5aa, v78, -v157
	v_fma_f32 v89, 0x3f5ff5aa, v89, -v158
	;; [unrolled: 1-line block ×4, first 2 shown]
	v_add_f32_e32 v70, v72, v96
	v_add_f32_e32 v71, v73, v97
	v_fma_f32 v82, 0x3f3bfb3b, v250, -v229
	v_fmamk_f32 v160, v83, 0x3eae86e6, v231
	v_fma_f32 v229, 0x3f5ff5aa, v79, -v231
	v_fma_f32 v231, 0x3f5ff5aa, v80, -v233
	v_add_f32_e32 v79, v228, v239
	v_add_f32_e32 v80, v238, v240
	v_add_f32_e32 v75, v251, v75
	v_add_f32_e32 v76, v252, v76
	v_fmamk_f32 v88, v88, 0x3d64c772, v81
	v_fma_f32 v156, 0x3f3bfb3b, v242, -v156
	v_fmamk_f32 v72, v94, 0x3d64c772, v92
	v_fmamk_f32 v73, v95, 0x3d64c772, v93
	v_fma_f32 v78, 0x3f3bfb3b, v249, -v227
	v_fma_f32 v86, 0xbf3bfb3b, v249, -v92
	;; [unrolled: 1-line block ×3, first 2 shown]
	v_fmamk_f32 v227, v84, 0x3eae86e6, v233
	v_fma_f32 v233, 0xbeae86e6, v83, -v235
	v_fma_f32 v235, 0xbeae86e6, v84, -v237
	v_sub_f32_e32 v83, v228, v239
	v_sub_f32_e32 v84, v238, v240
	;; [unrolled: 1-line block ×6, first 2 shown]
	v_add_f32_e32 v237, v243, v152
	v_add_f32_e32 v238, v232, v153
	v_sub_f32_e32 v239, v243, v152
	v_sub_f32_e32 v240, v232, v153
	;; [unrolled: 1-line block ×4, first 2 shown]
	v_fmamk_f32 v90, v90, 0xbf955555, v68
	v_fmamk_f32 v91, v91, 0xbf955555, v69
	v_fmac_f32_e32 v234, 0x3ee1c552, v74
	v_fmac_f32_e32 v241, 0x3ee1c552, v85
	;; [unrolled: 1-line block ×6, first 2 shown]
	v_fmamk_f32 v74, v96, 0xbf955555, v70
	v_fmamk_f32 v85, v97, 0xbf955555, v71
	v_add_f32_e32 v230, v230, v79
	v_add_f32_e32 v236, v236, v80
	v_fma_f32 v81, 0xbf3bfb3b, v242, -v81
	v_sub_f32_e32 v242, v151, v243
	v_sub_f32_e32 v232, v154, v232
	v_fmac_f32_e32 v160, 0x3ee1c552, v75
	v_fmac_f32_e32 v227, 0x3ee1c552, v76
	v_fmac_f32_e32 v229, 0x3ee1c552, v75
	v_fmac_f32_e32 v231, 0x3ee1c552, v76
	v_fmac_f32_e32 v233, 0x3ee1c552, v75
	v_fmac_f32_e32 v235, 0x3ee1c552, v76
	v_add_f32_e32 v237, v237, v151
	v_add_f32_e32 v238, v238, v154
	v_mul_f32_e32 v76, 0x3f4a47b2, v93
	v_mul_f32_e32 v79, 0x3f4a47b2, v94
	;; [unrolled: 1-line block ×8, first 2 shown]
	v_add_f32_e32 v154, v87, v90
	v_add_f32_e32 v239, v88, v91
	;; [unrolled: 1-line block ×14, first 2 shown]
	v_fmamk_f32 v246, v95, 0x3d64c772, v76
	v_fmamk_f32 v228, v228, 0x3d64c772, v79
	v_fma_f32 v247, 0x3f3bfb3b, v83, -v80
	v_fma_f32 v248, 0x3f3bfb3b, v84, -v93
	;; [unrolled: 1-line block ×4, first 2 shown]
	v_fmamk_f32 v76, v242, 0x3eae86e6, v94
	v_fmamk_f32 v77, v232, 0x3eae86e6, v96
	v_fma_f32 v80, 0x3f5ff5aa, v152, -v94
	v_fma_f32 v78, 0x3f5ff5aa, v153, -v96
	;; [unrolled: 1-line block ×4, first 2 shown]
	v_add_f32_e32 v72, v241, v154
	v_sub_f32_e32 v73, v239, v234
	v_add_f32_e32 v82, v159, v90
	v_sub_f32_e32 v84, v87, v89
	v_add_f32_e32 v85, v157, v88
	v_add_f32_e32 v86, v89, v87
	v_sub_f32_e32 v87, v88, v157
	v_sub_f32_e32 v88, v90, v159
	;; [unrolled: 1-line block ×3, first 2 shown]
	v_add_f32_e32 v92, v227, v155
	v_sub_f32_e32 v93, v156, v160
	v_sub_f32_e32 v153, v155, v227
	v_add_f32_e32 v154, v160, v156
	v_fmamk_f32 v155, v230, 0xbf955555, v74
	v_fmamk_f32 v156, v236, 0xbf955555, v75
	v_sub_f32_e32 v83, v91, v158
	v_add_f32_e32 v89, v158, v91
	v_add_f32_e32 v91, v234, v239
	v_fmac_f32_e32 v76, 0x3ee1c552, v237
	v_fmac_f32_e32 v77, 0x3ee1c552, v238
	;; [unrolled: 1-line block ×6, first 2 shown]
	ds_write_b64 v218, v[72:73] offset:2304
	ds_write_b64 v218, v[82:83] offset:4608
	;; [unrolled: 1-line block ×6, first 2 shown]
	ds_write2_b64 v164, v[68:69], v[70:71] offset1:112
	ds_write_b64 v218, v[92:93] offset:3200
	v_add_f32_e32 v83, v246, v155
	v_add_f32_e32 v82, v247, v155
	;; [unrolled: 1-line block ×7, first 2 shown]
	v_sub_f32_e32 v95, v245, v233
	v_add_f32_e32 v68, v78, v82
	v_sub_f32_e32 v69, v86, v80
	v_sub_f32_e32 v70, v84, v79
	v_add_f32_e32 v71, v81, v87
	v_sub_f32_e32 v72, v83, v77
	v_add_f32_e32 v73, v76, v85
	;; [unrolled: 2-line block ×3, first 2 shown]
	v_add_f32_e32 v149, v231, v240
	v_sub_f32_e32 v150, v243, v229
	v_sub_f32_e32 v151, v244, v235
	v_add_f32_e32 v152, v233, v245
	ds_write_b64 v218, v[94:95] offset:5504
	ds_write_b64 v218, v[96:97] offset:7808
	;; [unrolled: 1-line block ×5, first 2 shown]
	s_and_saveexec_b32 s0, vcc_lo
	s_cbranch_execz .LBB0_5
; %bb.4:
	v_add_f32_e32 v80, v80, v86
	v_sub_f32_e32 v86, v87, v81
	v_sub_f32_e32 v88, v85, v76
	v_add_f32_e32 v87, v77, v83
	v_add_f32_e32 v85, v79, v84
	v_sub_f32_e32 v79, v82, v78
	ds_write_b64 v164, v[74:75] offset:1792
	ds_write_b64 v218, v[87:88] offset:4096
	;; [unrolled: 1-line block ×7, first 2 shown]
.LBB0_5:
	s_or_b32 exec_lo, exec_lo, s0
	v_lshlrev_b32_e32 v155, 3, v163
	s_add_u32 s4, s12, 0x3f00
	s_addc_u32 s5, s13, 0
	s_waitcnt lgkmcnt(0)
	s_barrier
	buffer_gl0_inv
	s_clause 0x2
	global_load_dwordx2 v[78:79], v155, s[4:5] offset:896
	global_load_dwordx2 v[80:81], v208, s[4:5]
	global_load_dwordx2 v[82:83], v155, s[4:5]
	ds_read2_b64 v[74:77], v164 offset1:112
	global_load_dwordx2 v[90:91], v201, s[4:5]
	v_add_co_u32 v201, s0, s4, v155
	v_add_co_ci_u32_e64 v208, null, s5, 0, s0
	s_waitcnt vmcnt(3) lgkmcnt(0)
	v_mul_f32_e32 v89, v76, v79
	s_waitcnt vmcnt(1)
	v_mul_f32_e32 v84, v75, v83
	v_mul_f32_e32 v87, v74, v83
	v_fmac_f32_e32 v89, v77, v78
	v_fma_f32 v86, v74, v82, -v84
	v_mul_f32_e32 v74, v77, v79
	v_fmac_f32_e32 v87, v75, v82
	v_fma_f32 v88, v76, v78, -v74
	v_add_nc_u32_e32 v78, 0x1800, v164
	ds_read2_b64 v[74:77], v78 offset0:128 offset1:240
	s_waitcnt lgkmcnt(0)
	v_mul_f32_e32 v79, v75, v81
	v_mul_f32_e32 v93, v74, v81
	v_fma_f32 v92, v74, v80, -v79
	v_add_co_u32 v74, s0, 0x1800, v201
	v_fmac_f32_e32 v93, v75, v80
	v_add_co_ci_u32_e64 v75, s0, 0, v208, s0
	v_add_co_u32 v80, s0, 0x2000, v201
	v_add_co_ci_u32_e64 v81, s0, 0, v208, s0
	s_clause 0x2
	global_load_dwordx2 v[82:83], v[74:75], off offset:1920
	global_load_dwordx2 v[84:85], v[80:81], off offset:768
	;; [unrolled: 1-line block ×3, first 2 shown]
	v_add_nc_u32_e32 v79, 0x2000, v164
	s_waitcnt vmcnt(2)
	v_mul_f32_e32 v74, v77, v83
	v_mul_f32_e32 v97, v76, v83
	v_fma_f32 v96, v76, v82, -v74
	v_fmac_f32_e32 v97, v77, v82
	ds_read2_b64 v[74:77], v79 offset0:96 offset1:208
	s_waitcnt vmcnt(1) lgkmcnt(0)
	v_mul_f32_e32 v82, v75, v85
	v_mul_f32_e32 v150, v74, v85
	v_fma_f32 v149, v74, v84, -v82
	v_fmac_f32_e32 v150, v75, v84
	global_load_dwordx2 v[74:75], v[80:81], off offset:1664
	v_add_co_u32 v80, s0, 0x800, v201
	v_add_co_ci_u32_e64 v81, s0, 0, v208, s0
	s_clause 0x1
	global_load_dwordx2 v[84:85], v[80:81], off offset:640
	global_load_dwordx2 v[151:152], v[80:81], off offset:1536
	s_waitcnt vmcnt(2)
	v_mul_f32_e32 v80, v77, v75
	v_mul_f32_e32 v154, v76, v75
	v_add_nc_u32_e32 v75, 0x400, v164
	v_fma_f32 v153, v76, v74, -v80
	v_fmac_f32_e32 v154, v77, v74
	global_load_dwordx2 v[76:77], v155, s[4:5] offset:1792
	ds_read2_b64 v[80:83], v75 offset0:96 offset1:208
	s_waitcnt vmcnt(2) lgkmcnt(0)
	v_mul_f32_e32 v158, v82, v85
	v_fmac_f32_e32 v158, v83, v84
	s_waitcnt vmcnt(0)
	v_mul_f32_e32 v74, v81, v77
	v_mul_f32_e32 v156, v80, v77
	v_fma_f32 v155, v80, v76, -v74
	v_fmac_f32_e32 v156, v81, v76
	v_add_co_u32 v76, s0, 0x2800, v201
	v_add_co_ci_u32_e64 v77, s0, 0, v208, s0
	v_mul_f32_e32 v74, v83, v85
	v_add_nc_u32_e32 v80, 0x2800, v164
	s_clause 0x1
	global_load_dwordx2 v[159:160], v[76:77], off offset:512
	global_load_dwordx2 v[76:77], v[76:77], off offset:1408
	v_fma_f32 v157, v82, v84, -v74
	ds_read2_b64 v[81:84], v80 offset0:64 offset1:176
	s_waitcnt vmcnt(1) lgkmcnt(0)
	v_mul_f32_e32 v74, v82, v160
	v_mul_f32_e32 v228, v81, v160
	s_waitcnt vmcnt(0)
	v_mul_f32_e32 v232, v83, v77
	v_fma_f32 v227, v81, v159, -v74
	v_add_co_u32 v81, s0, 0x1000, v201
	v_fmac_f32_e32 v228, v82, v159
	v_add_co_ci_u32_e64 v82, s0, 0, v208, s0
	s_clause 0x1
	global_load_dwordx2 v[159:160], v[81:82], off offset:384
	global_load_dwordx2 v[229:230], v[81:82], off offset:1280
	v_mul_f32_e32 v74, v84, v77
	v_fmac_f32_e32 v232, v84, v76
	v_fma_f32 v231, v83, v76, -v74
	v_add_nc_u32_e32 v74, 0xc00, v164
	ds_read2_b64 v[81:84], v74 offset0:64 offset1:176
	s_waitcnt lgkmcnt(0)
	v_mul_f32_e32 v76, v82, v152
	v_mul_f32_e32 v234, v81, v152
	v_fma_f32 v233, v81, v151, -v76
	v_fmac_f32_e32 v234, v82, v151
	s_waitcnt vmcnt(1)
	v_mul_f32_e32 v76, v84, v160
	v_mul_f32_e32 v152, v83, v160
	v_fma_f32 v151, v83, v159, -v76
	v_fmac_f32_e32 v152, v84, v159
	v_add_co_u32 v159, s0, 0x3000, v201
	v_add_co_ci_u32_e64 v160, s0, 0, v208, s0
	v_add_nc_u32_e32 v76, 0x3000, v164
	global_load_dwordx2 v[235:236], v[159:160], off offset:256
	ds_read2_b64 v[81:84], v76 offset0:32 offset1:144
	s_waitcnt vmcnt(0) lgkmcnt(0)
	v_mul_f32_e32 v77, v82, v236
	v_mul_f32_e32 v238, v81, v236
	v_fma_f32 v237, v81, v235, -v77
	v_add_co_u32 v81, s0, 0x3800, v201
	v_fmac_f32_e32 v238, v82, v235
	v_add_co_ci_u32_e64 v82, s0, 0, v208, s0
	s_clause 0x1
	global_load_dwordx2 v[159:160], v[159:160], off offset:1152
	global_load_dwordx2 v[235:236], v[81:82], off offset:896
	v_add_nc_u32_e32 v81, 0x1400, v164
	s_waitcnt vmcnt(1)
	v_mul_f32_e32 v77, v84, v160
	v_mul_f32_e32 v240, v83, v160
	v_fma_f32 v239, v83, v159, -v77
	v_fmac_f32_e32 v240, v84, v159
	ds_read2_b64 v[82:85], v81 offset0:32 offset1:144
	s_waitcnt lgkmcnt(0)
	v_mul_f32_e32 v77, v83, v230
	v_mul_f32_e32 v160, v82, v230
	;; [unrolled: 1-line block ×3, first 2 shown]
	v_fma_f32 v159, v82, v229, -v77
	v_mul_f32_e32 v77, v85, v95
	v_fmac_f32_e32 v160, v83, v229
	v_fmac_f32_e32 v230, v85, v94
	v_fma_f32 v229, v84, v94, -v77
	v_add_nc_u32_e32 v77, 0x3800, v164
	ds_read2_b64 v[82:85], v77 offset1:112
	s_waitcnt lgkmcnt(0)
	v_mul_f32_e32 v94, v83, v91
	v_mul_f32_e32 v95, v82, v91
	v_fma_f32 v94, v82, v90, -v94
	v_fmac_f32_e32 v95, v83, v90
	s_waitcnt vmcnt(0)
	v_mul_f32_e32 v82, v85, v236
	v_mul_f32_e32 v83, v84, v236
	v_fma_f32 v82, v84, v235, -v82
	v_fmac_f32_e32 v83, v85, v235
	ds_write2_b64 v164, v[86:87], v[88:89] offset1:112
	ds_write2_b64 v79, v[149:150], v[153:154] offset0:96 offset1:208
	ds_write2_b64 v75, v[155:156], v[157:158] offset0:96 offset1:208
	;; [unrolled: 1-line block ×7, first 2 shown]
	ds_write2_b64 v77, v[94:95], v[82:83] offset1:112
	s_waitcnt lgkmcnt(0)
	s_barrier
	buffer_gl0_inv
	ds_read2_b64 v[82:85], v164 offset1:112
	ds_read2_b64 v[86:89], v78 offset0:128 offset1:240
	ds_read2_b64 v[92:95], v79 offset0:96 offset1:208
	;; [unrolled: 1-line block ×7, first 2 shown]
	ds_read2_b64 v[235:238], v77 offset1:112
	s_waitcnt lgkmcnt(0)
	s_barrier
	buffer_gl0_inv
	v_sub_f32_e32 v90, v82, v88
	v_sub_f32_e32 v91, v83, v89
	v_fma_f32 v88, v82, 2.0, -v90
	v_fma_f32 v89, v83, 2.0, -v91
	ds_write_b128 v187, v[88:91]
	v_sub_f32_e32 v90, v84, v92
	v_sub_f32_e32 v91, v85, v93
	v_fma_f32 v88, v84, 2.0, -v90
	v_fma_f32 v89, v85, 2.0, -v91
	v_sub_f32_e32 v84, v149, v94
	v_sub_f32_e32 v85, v150, v95
	ds_write_b128 v182, v[88:91]
	v_fma_f32 v82, v149, 2.0, -v84
	v_fma_f32 v83, v150, 2.0, -v85
	ds_write_b128 v178, v[82:85]
	v_sub_f32_e32 v84, v151, v153
	v_sub_f32_e32 v85, v152, v154
	v_fma_f32 v82, v151, 2.0, -v84
	v_fma_f32 v83, v152, 2.0, -v85
	ds_write_b128 v200, v[82:85]
	v_sub_f32_e32 v84, v157, v155
	v_sub_f32_e32 v85, v158, v156
	;; [unrolled: 5-line block ×6, first 2 shown]
	v_fma_f32 v82, v86, 2.0, -v84
	v_fma_f32 v83, v87, 2.0, -v85
	ds_write_b128 v195, v[82:85]
	s_waitcnt lgkmcnt(0)
	s_barrier
	buffer_gl0_inv
	ds_read2_b64 v[82:85], v79 offset0:96 offset1:208
	s_waitcnt lgkmcnt(0)
	v_mul_f32_e32 v153, v142, v83
	v_mul_f32_e32 v155, v142, v85
	v_fmac_f32_e32 v153, v141, v82
	v_mul_f32_e32 v82, v142, v82
	v_fmac_f32_e32 v155, v141, v84
	v_fma_f32 v154, v141, v83, -v82
	v_mul_f32_e32 v82, v142, v84
	v_fma_f32 v156, v141, v85, -v82
	ds_read2_b64 v[82:85], v80 offset0:64 offset1:176
	s_waitcnt lgkmcnt(0)
	v_mul_f32_e32 v157, v142, v83
	v_mul_f32_e32 v159, v142, v85
	v_fmac_f32_e32 v157, v141, v82
	v_mul_f32_e32 v82, v142, v82
	v_fmac_f32_e32 v159, v141, v84
	v_fma_f32 v158, v141, v83, -v82
	v_mul_f32_e32 v82, v142, v84
	v_fma_f32 v160, v141, v85, -v82
	;; [unrolled: 10-line block ×3, first 2 shown]
	ds_read2_b64 v[82:85], v77 offset1:112
	s_waitcnt lgkmcnt(0)
	v_mul_f32_e32 v196, v142, v83
	v_mul_f32_e32 v198, v142, v85
	v_fmac_f32_e32 v196, v141, v82
	v_mul_f32_e32 v82, v142, v82
	v_fmac_f32_e32 v198, v141, v84
	v_fma_f32 v197, v141, v83, -v82
	v_mul_f32_e32 v82, v142, v84
	v_fma_f32 v199, v141, v85, -v82
	ds_read2_b64 v[82:85], v78 offset0:128 offset1:240
	s_waitcnt lgkmcnt(0)
	v_mul_f32_e32 v88, v142, v85
	v_fmac_f32_e32 v88, v141, v84
	v_mul_f32_e32 v84, v142, v84
	v_fma_f32 v89, v141, v85, -v84
	ds_read2_b64 v[84:87], v164 offset1:112
	s_waitcnt lgkmcnt(0)
	v_sub_f32_e32 v96, v84, v88
	v_sub_f32_e32 v97, v85, v89
	ds_read2_b64 v[88:91], v75 offset0:96 offset1:208
	ds_read2_b64 v[92:95], v74 offset0:64 offset1:176
	;; [unrolled: 1-line block ×3, first 2 shown]
	s_waitcnt lgkmcnt(0)
	s_barrier
	v_fma_f32 v84, v84, 2.0, -v96
	v_fma_f32 v85, v85, 2.0, -v97
	buffer_gl0_inv
	ds_write2_b64 v185, v[84:85], v[96:97] offset1:2
	v_sub_f32_e32 v84, v86, v153
	v_sub_f32_e32 v85, v87, v154
	v_fma_f32 v86, v86, 2.0, -v84
	v_fma_f32 v87, v87, 2.0, -v85
	ds_write2_b64 v186, v[86:87], v[84:85] offset1:2
	v_sub_f32_e32 v84, v88, v155
	v_sub_f32_e32 v85, v89, v156
	v_fma_f32 v86, v88, 2.0, -v84
	v_fma_f32 v87, v89, 2.0, -v85
	;; [unrolled: 5-line block ×8, first 2 shown]
	ds_write2_b64 v165, v[82:83], v[84:85] offset1:2
	s_waitcnt lgkmcnt(0)
	s_barrier
	buffer_gl0_inv
	ds_read2_b64 v[82:85], v79 offset0:96 offset1:208
	s_waitcnt lgkmcnt(0)
	v_mul_f32_e32 v141, v138, v83
	v_mul_f32_e32 v153, v138, v85
	v_fmac_f32_e32 v141, v137, v82
	v_mul_f32_e32 v82, v138, v82
	v_fmac_f32_e32 v153, v137, v84
	v_fma_f32 v142, v137, v83, -v82
	v_mul_f32_e32 v82, v138, v84
	v_fma_f32 v154, v137, v85, -v82
	ds_read2_b64 v[82:85], v80 offset0:64 offset1:176
	s_waitcnt lgkmcnt(0)
	v_mul_f32_e32 v155, v138, v83
	v_mul_f32_e32 v157, v138, v85
	v_fmac_f32_e32 v155, v137, v82
	v_mul_f32_e32 v82, v138, v82
	v_fmac_f32_e32 v157, v137, v84
	v_fma_f32 v156, v137, v83, -v82
	v_mul_f32_e32 v82, v138, v84
	v_fma_f32 v158, v137, v85, -v82
	;; [unrolled: 10-line block ×3, first 2 shown]
	ds_read2_b64 v[82:85], v77 offset1:112
	s_waitcnt lgkmcnt(0)
	v_mul_f32_e32 v169, v138, v83
	v_mul_f32_e32 v174, v138, v85
	v_fmac_f32_e32 v169, v137, v82
	v_mul_f32_e32 v82, v138, v82
	v_fmac_f32_e32 v174, v137, v84
	v_fma_f32 v171, v137, v83, -v82
	v_mul_f32_e32 v82, v138, v84
	v_fma_f32 v177, v137, v85, -v82
	ds_read2_b64 v[82:85], v78 offset0:128 offset1:240
	s_waitcnt lgkmcnt(0)
	v_mul_f32_e32 v88, v138, v85
	v_fmac_f32_e32 v88, v137, v84
	v_mul_f32_e32 v84, v138, v84
	v_fma_f32 v89, v137, v85, -v84
	ds_read2_b64 v[84:87], v164 offset1:112
	s_waitcnt lgkmcnt(0)
	v_sub_f32_e32 v96, v84, v88
	v_sub_f32_e32 v97, v85, v89
	ds_read2_b64 v[88:91], v75 offset0:96 offset1:208
	ds_read2_b64 v[92:95], v74 offset0:64 offset1:176
	;; [unrolled: 1-line block ×3, first 2 shown]
	s_waitcnt lgkmcnt(0)
	s_barrier
	v_fma_f32 v84, v84, 2.0, -v96
	v_fma_f32 v85, v85, 2.0, -v97
	buffer_gl0_inv
	ds_write2_b64 v166, v[84:85], v[96:97] offset1:4
	v_sub_f32_e32 v84, v86, v141
	v_sub_f32_e32 v85, v87, v142
	v_fma_f32 v86, v86, 2.0, -v84
	v_fma_f32 v87, v87, 2.0, -v85
	ds_write2_b64 v194, v[86:87], v[84:85] offset1:4
	v_sub_f32_e32 v84, v88, v153
	v_sub_f32_e32 v85, v89, v154
	v_fma_f32 v86, v88, 2.0, -v84
	v_fma_f32 v87, v89, 2.0, -v85
	;; [unrolled: 5-line block ×8, first 2 shown]
	ds_write2_b64 v173, v[82:83], v[84:85] offset1:4
	s_waitcnt lgkmcnt(0)
	s_barrier
	buffer_gl0_inv
	ds_read2_b64 v[82:85], v79 offset0:96 offset1:208
	s_waitcnt lgkmcnt(0)
	v_mul_f32_e32 v141, v140, v83
	v_mul_f32_e32 v149, v140, v85
	v_fmac_f32_e32 v141, v139, v82
	v_mul_f32_e32 v82, v140, v82
	v_fmac_f32_e32 v149, v139, v84
	v_fma_f32 v142, v139, v83, -v82
	v_mul_f32_e32 v82, v140, v84
	v_fma_f32 v150, v139, v85, -v82
	ds_read2_b64 v[82:85], v80 offset0:64 offset1:176
	s_waitcnt lgkmcnt(0)
	v_mul_f32_e32 v151, v140, v83
	v_mul_f32_e32 v153, v140, v85
	v_fmac_f32_e32 v151, v139, v82
	v_mul_f32_e32 v82, v140, v82
	v_fmac_f32_e32 v153, v139, v84
	v_fma_f32 v152, v139, v83, -v82
	v_mul_f32_e32 v82, v140, v84
	v_fma_f32 v154, v139, v85, -v82
	;; [unrolled: 10-line block ×3, first 2 shown]
	ds_read2_b64 v[82:85], v77 offset1:112
	s_waitcnt lgkmcnt(0)
	v_mul_f32_e32 v159, v140, v83
	v_mul_f32_e32 v165, v140, v85
	v_fmac_f32_e32 v159, v139, v82
	v_mul_f32_e32 v82, v140, v82
	v_fmac_f32_e32 v165, v139, v84
	v_fma_f32 v160, v139, v83, -v82
	v_mul_f32_e32 v82, v140, v84
	v_fma_f32 v166, v139, v85, -v82
	ds_read2_b64 v[82:85], v78 offset0:128 offset1:240
	s_waitcnt lgkmcnt(0)
	v_mul_f32_e32 v88, v140, v85
	v_fmac_f32_e32 v88, v139, v84
	v_mul_f32_e32 v84, v140, v84
	v_fma_f32 v89, v139, v85, -v84
	ds_read2_b64 v[84:87], v164 offset1:112
	s_waitcnt lgkmcnt(0)
	v_sub_f32_e32 v96, v84, v88
	v_sub_f32_e32 v97, v85, v89
	ds_read2_b64 v[88:91], v75 offset0:96 offset1:208
	ds_read2_b64 v[92:95], v74 offset0:64 offset1:176
	;; [unrolled: 1-line block ×3, first 2 shown]
	s_waitcnt lgkmcnt(0)
	s_barrier
	v_fma_f32 v84, v84, 2.0, -v96
	v_fma_f32 v85, v85, 2.0, -v97
	buffer_gl0_inv
	ds_write2_b64 v190, v[84:85], v[96:97] offset1:8
	v_sub_f32_e32 v84, v86, v141
	v_sub_f32_e32 v85, v87, v142
	v_fma_f32 v86, v86, 2.0, -v84
	v_fma_f32 v87, v87, 2.0, -v85
	ds_write2_b64 v191, v[86:87], v[84:85] offset1:8
	v_sub_f32_e32 v84, v88, v149
	v_sub_f32_e32 v85, v89, v150
	v_fma_f32 v86, v88, 2.0, -v84
	v_fma_f32 v87, v89, 2.0, -v85
	;; [unrolled: 5-line block ×8, first 2 shown]
	ds_write2_b64 v168, v[82:83], v[84:85] offset1:8
	s_waitcnt lgkmcnt(0)
	s_barrier
	buffer_gl0_inv
	ds_read2_b64 v[82:85], v79 offset0:96 offset1:208
	s_waitcnt lgkmcnt(0)
	v_mul_f32_e32 v139, v136, v83
	v_mul_f32_e32 v141, v136, v85
	v_fmac_f32_e32 v139, v135, v82
	v_mul_f32_e32 v82, v136, v82
	v_fmac_f32_e32 v141, v135, v84
	v_fma_f32 v140, v135, v83, -v82
	v_mul_f32_e32 v82, v136, v84
	v_fma_f32 v142, v135, v85, -v82
	ds_read2_b64 v[82:85], v80 offset0:64 offset1:176
	s_waitcnt lgkmcnt(0)
	v_mul_f32_e32 v149, v136, v83
	v_mul_f32_e32 v151, v136, v85
	v_fmac_f32_e32 v149, v135, v82
	v_mul_f32_e32 v82, v136, v82
	v_fmac_f32_e32 v151, v135, v84
	v_fma_f32 v150, v135, v83, -v82
	v_mul_f32_e32 v82, v136, v84
	v_fma_f32 v152, v135, v85, -v82
	;; [unrolled: 10-line block ×3, first 2 shown]
	ds_read2_b64 v[82:85], v77 offset1:112
	s_waitcnt lgkmcnt(0)
	v_mul_f32_e32 v157, v136, v83
	v_mul_f32_e32 v159, v136, v85
	v_fmac_f32_e32 v157, v135, v82
	v_mul_f32_e32 v82, v136, v82
	v_fmac_f32_e32 v159, v135, v84
	v_fma_f32 v158, v135, v83, -v82
	v_mul_f32_e32 v82, v136, v84
	v_fma_f32 v160, v135, v85, -v82
	ds_read2_b64 v[82:85], v78 offset0:128 offset1:240
	s_waitcnt lgkmcnt(0)
	v_mul_f32_e32 v88, v136, v85
	v_fmac_f32_e32 v88, v135, v84
	v_mul_f32_e32 v84, v136, v84
	v_fma_f32 v89, v135, v85, -v84
	ds_read2_b64 v[84:87], v164 offset1:112
	s_waitcnt lgkmcnt(0)
	v_sub_f32_e32 v96, v84, v88
	v_sub_f32_e32 v97, v85, v89
	ds_read2_b64 v[88:91], v75 offset0:96 offset1:208
	ds_read2_b64 v[92:95], v74 offset0:64 offset1:176
	;; [unrolled: 1-line block ×3, first 2 shown]
	s_waitcnt lgkmcnt(0)
	s_barrier
	v_fma_f32 v84, v84, 2.0, -v96
	v_fma_f32 v85, v85, 2.0, -v97
	buffer_gl0_inv
	ds_write2_b64 v212, v[84:85], v[96:97] offset1:16
	v_sub_f32_e32 v84, v86, v139
	v_sub_f32_e32 v85, v87, v140
	v_fma_f32 v86, v86, 2.0, -v84
	v_fma_f32 v87, v87, 2.0, -v85
	ds_write2_b64 v213, v[86:87], v[84:85] offset1:16
	v_sub_f32_e32 v84, v88, v141
	v_sub_f32_e32 v85, v89, v142
	v_fma_f32 v86, v88, 2.0, -v84
	v_fma_f32 v87, v89, 2.0, -v85
	;; [unrolled: 5-line block ×8, first 2 shown]
	ds_write2_b64 v204, v[82:83], v[84:85] offset1:16
	s_waitcnt lgkmcnt(0)
	s_barrier
	buffer_gl0_inv
	ds_read2_b64 v[82:85], v80 offset0:64 offset1:176
	s_waitcnt lgkmcnt(0)
	v_mul_f32_e32 v88, v3, v83
	v_mul_f32_e32 v90, v148, v85
	v_fmac_f32_e32 v88, v2, v82
	v_mul_f32_e32 v82, v3, v82
	v_fmac_f32_e32 v90, v146, v84
	v_fma_f32 v89, v2, v83, -v82
	v_mul_f32_e32 v82, v148, v84
	v_fma_f32 v91, v146, v85, -v82
	ds_read2_b64 v[82:85], v78 offset0:128 offset1:240
	s_waitcnt lgkmcnt(0)
	v_mul_f32_e32 v92, v1, v83
	v_mul_f32_e32 v94, v5, v85
	v_mul_f32_e32 v5, v5, v84
	v_fmac_f32_e32 v92, v0, v82
	v_mul_f32_e32 v82, v1, v82
	v_fmac_f32_e32 v94, v4, v84
	v_fma_f32 v95, v4, v85, -v5
	v_fma_f32 v93, v0, v83, -v82
	ds_read2_b64 v[82:85], v76 offset0:32 offset1:144
	s_waitcnt lgkmcnt(0)
	v_mul_f32_e32 v4, v7, v84
	v_mul_f32_e32 v96, v7, v85
	;; [unrolled: 1-line block ×3, first 2 shown]
	v_fma_f32 v97, v6, v85, -v4
	v_mul_f32_e32 v4, v3, v82
	v_fmac_f32_e32 v96, v6, v84
	v_fmac_f32_e32 v135, v2, v82
	v_fma_f32 v136, v2, v83, -v4
	ds_read2_b64 v[4:7], v77 offset1:112
	s_waitcnt lgkmcnt(0)
	v_mul_f32_e32 v139, v3, v5
	v_mul_f32_e32 v3, v3, v4
	;; [unrolled: 1-line block ×4, first 2 shown]
	v_fmac_f32_e32 v139, v2, v4
	v_fma_f32 v140, v2, v5, -v3
	ds_read2_b64 v[2:5], v81 offset0:32 offset1:144
	v_fma_f32 v138, v147, v7, -v82
	ds_read2_b64 v[82:85], v79 offset0:96 offset1:208
	v_fmac_f32_e32 v137, v147, v6
	s_waitcnt lgkmcnt(1)
	v_mul_f32_e32 v6, v1, v3
	s_waitcnt lgkmcnt(0)
	v_mul_f32_e32 v141, v1, v83
	v_mul_f32_e32 v146, v145, v85
	v_fmac_f32_e32 v6, v0, v2
	v_mul_f32_e32 v2, v1, v2
	v_mul_f32_e32 v1, v1, v82
	v_fmac_f32_e32 v141, v0, v82
	v_fmac_f32_e32 v146, v143, v84
	v_sub_f32_e32 v148, v6, v88
	v_fma_f32 v7, v0, v3, -v2
	v_fma_f32 v142, v0, v83, -v1
	v_mul_f32_e32 v0, v145, v84
	v_mul_f32_e32 v145, v144, v5
	v_sub_f32_e32 v147, v7, v89
	v_fma_f32 v143, v143, v85, -v0
	v_mul_f32_e32 v0, v144, v4
	v_fmac_f32_e32 v145, v202, v4
	v_fma_f32 v144, v202, v5, -v0
	ds_read2_b64 v[0:3], v164 offset1:112
	s_waitcnt lgkmcnt(0)
	v_add_f32_e32 v4, v0, v6
	v_add_f32_e32 v5, v1, v7
	;; [unrolled: 1-line block ×6, first 2 shown]
	v_fma_f32 v1, -0.5, v4, v1
	v_fma_f32 v0, -0.5, v5, v0
	ds_read2_b64 v[4:7], v75 offset0:96 offset1:208
	ds_read2_b64 v[82:85], v74 offset0:64 offset1:176
	s_waitcnt lgkmcnt(0)
	s_barrier
	v_fmamk_f32 v89, v148, 0x3f5db3d7, v1
	v_fmamk_f32 v88, v147, 0xbf5db3d7, v0
	v_fmac_f32_e32 v0, 0x3f5db3d7, v147
	v_fmac_f32_e32 v1, 0xbf5db3d7, v148
	buffer_gl0_inv
	ds_write2_b64 v220, v[86:87], v[88:89] offset1:32
	v_add_f32_e32 v86, v3, v144
	ds_write_b64 v220, v[0:1] offset:512
	v_add_f32_e32 v0, v145, v90
	v_add_f32_e32 v1, v2, v145
	v_sub_f32_e32 v88, v144, v91
	v_sub_f32_e32 v89, v145, v90
	v_fma_f32 v2, -0.5, v0, v2
	v_add_f32_e32 v0, v1, v90
	v_add_f32_e32 v1, v86, v91
	;; [unrolled: 1-line block ×3, first 2 shown]
	v_fmac_f32_e32 v3, -0.5, v86
	v_fmamk_f32 v86, v88, 0xbf5db3d7, v2
	v_fmac_f32_e32 v2, 0x3f5db3d7, v88
	v_sub_f32_e32 v88, v146, v137
	v_fmamk_f32 v87, v89, 0x3f5db3d7, v3
	v_fmac_f32_e32 v3, 0xbf5db3d7, v89
	ds_write2_b64 v226, v[0:1], v[86:87] offset1:32
	ds_write_b64 v226, v[2:3] offset:512
	v_add_f32_e32 v3, v93, v136
	v_add_f32_e32 v2, v92, v135
	;; [unrolled: 1-line block ×4, first 2 shown]
	v_sub_f32_e32 v86, v93, v136
	v_fma_f32 v3, -0.5, v3, v5
	v_fma_f32 v2, -0.5, v2, v4
	v_sub_f32_e32 v87, v92, v135
	v_add_f32_e32 v0, v0, v135
	v_add_f32_e32 v1, v1, v136
	v_fmamk_f32 v4, v86, 0xbf5db3d7, v2
	v_fmamk_f32 v5, v87, 0x3f5db3d7, v3
	v_fmac_f32_e32 v2, 0x3f5db3d7, v86
	v_fmac_f32_e32 v3, 0xbf5db3d7, v87
	v_sub_f32_e32 v86, v142, v140
	v_sub_f32_e32 v87, v143, v138
	ds_write2_b64 v221, v[0:1], v[4:5] offset1:32
	v_add_f32_e32 v0, v94, v96
	ds_write_b64 v221, v[2:3] offset:512
	v_add_f32_e32 v1, v6, v94
	v_add_f32_e32 v2, v7, v95
	v_sub_f32_e32 v4, v95, v97
	v_fma_f32 v6, -0.5, v0, v6
	v_sub_f32_e32 v5, v94, v96
	v_add_f32_e32 v0, v1, v96
	v_add_f32_e32 v1, v2, v97
	;; [unrolled: 1-line block ×3, first 2 shown]
	v_fmac_f32_e32 v7, -0.5, v2
	v_fmamk_f32 v2, v4, 0xbf5db3d7, v6
	v_fmac_f32_e32 v6, 0x3f5db3d7, v4
	v_add_f32_e32 v4, v146, v137
	v_fmamk_f32 v3, v5, 0x3f5db3d7, v7
	v_fmac_f32_e32 v7, 0xbf5db3d7, v5
	v_add_f32_e32 v5, v84, v146
	v_fma_f32 v84, -0.5, v4, v84
	ds_write2_b64 v216, v[0:1], v[2:3] offset1:32
	v_add_f32_e32 v3, v142, v140
	v_add_f32_e32 v2, v141, v139
	;; [unrolled: 1-line block ×3, first 2 shown]
	ds_write_b64 v216, v[6:7] offset:512
	v_add_f32_e32 v0, v82, v141
	v_fma_f32 v3, -0.5, v3, v83
	v_add_f32_e32 v83, v143, v138
	v_fma_f32 v2, -0.5, v2, v82
	v_add_f32_e32 v6, v85, v143
	v_sub_f32_e32 v82, v141, v139
	v_add_f32_e32 v0, v0, v139
	v_fmac_f32_e32 v85, -0.5, v83
	v_add_f32_e32 v1, v1, v140
	v_add_f32_e32 v4, v5, v137
	;; [unrolled: 1-line block ×3, first 2 shown]
	v_fmamk_f32 v6, v86, 0xbf5db3d7, v2
	v_fmamk_f32 v7, v82, 0x3f5db3d7, v3
	v_fmac_f32_e32 v2, 0x3f5db3d7, v86
	v_fmac_f32_e32 v3, 0xbf5db3d7, v82
	v_fmamk_f32 v82, v87, 0xbf5db3d7, v84
	v_fmamk_f32 v83, v88, 0x3f5db3d7, v85
	v_fmac_f32_e32 v84, 0x3f5db3d7, v87
	v_fmac_f32_e32 v85, 0xbf5db3d7, v88
	ds_write2_b64 v215, v[0:1], v[6:7] offset1:32
	ds_write_b64 v215, v[2:3] offset:512
	ds_write2_b64 v214, v[4:5], v[82:83] offset1:32
	ds_write_b64 v214, v[84:85] offset:512
	s_waitcnt lgkmcnt(0)
	s_barrier
	buffer_gl0_inv
	ds_read2_b64 v[0:3], v81 offset0:32 offset1:144
	ds_read2_b64 v[4:7], v80 offset0:64 offset1:176
	;; [unrolled: 1-line block ×4, first 2 shown]
	s_waitcnt lgkmcnt(3)
	v_mul_f32_e32 v88, v41, v1
	v_mul_f32_e32 v41, v41, v0
	s_waitcnt lgkmcnt(2)
	v_mul_f32_e32 v89, v43, v5
	v_mul_f32_e32 v43, v43, v4
	v_fmac_f32_e32 v88, v40, v0
	v_fma_f32 v40, v40, v1, -v41
	v_mul_f32_e32 v41, v37, v3
	v_mul_f32_e32 v0, v37, v2
	v_fmac_f32_e32 v89, v42, v4
	v_mul_f32_e32 v37, v39, v7
	v_mul_f32_e32 v4, v39, v6
	v_fmac_f32_e32 v41, v36, v2
	v_fma_f32 v36, v36, v3, -v0
	ds_read2_b64 v[0:3], v79 offset0:96 offset1:208
	v_fma_f32 v42, v42, v5, -v43
	v_fmac_f32_e32 v37, v38, v6
	s_waitcnt lgkmcnt(2)
	v_mul_f32_e32 v39, v33, v81
	v_fma_f32 v38, v38, v7, -v4
	ds_read2_b64 v[4:7], v77 offset1:112
	v_mul_f32_e32 v33, v33, v80
	s_waitcnt lgkmcnt(2)
	v_mul_f32_e32 v43, v35, v85
	v_mul_f32_e32 v35, v35, v84
	v_fmac_f32_e32 v39, v32, v80
	v_mul_f32_e32 v77, v29, v83
	v_fma_f32 v76, v32, v81, -v33
	v_fmac_f32_e32 v43, v34, v84
	v_fma_f32 v80, v34, v85, -v35
	v_mul_f32_e32 v81, v31, v87
	v_mul_f32_e32 v35, v31, v86
	ds_read2_b64 v[31:34], v164 offset1:112
	v_mul_f32_e32 v29, v29, v82
	v_fmac_f32_e32 v77, v28, v82
	v_fmac_f32_e32 v81, v30, v86
	v_fma_f32 v84, v30, v87, -v35
	s_waitcnt lgkmcnt(2)
	v_mul_f32_e32 v87, v21, v3
	v_fma_f32 v82, v28, v83, -v29
	v_mul_f32_e32 v83, v25, v1
	v_mul_f32_e32 v25, v25, v0
	s_waitcnt lgkmcnt(1)
	v_mul_f32_e32 v85, v27, v5
	v_mul_f32_e32 v27, v27, v4
	;; [unrolled: 1-line block ×3, first 2 shown]
	v_fmac_f32_e32 v83, v24, v0
	v_fma_f32 v86, v24, v1, -v25
	v_mul_f32_e32 v0, v21, v2
	v_add_f32_e32 v1, v88, v89
	v_fmac_f32_e32 v85, v26, v4
	v_fma_f32 v90, v26, v5, -v27
	v_fmac_f32_e32 v87, v20, v2
	v_fma_f32 v92, v20, v3, -v0
	v_mul_f32_e32 v0, v23, v6
	v_fmac_f32_e32 v91, v22, v6
	s_waitcnt lgkmcnt(0)
	v_add_f32_e32 v2, v31, v88
	v_fma_f32 v20, -0.5, v1, v31
	v_sub_f32_e32 v1, v40, v42
	ds_read2_b64 v[3:6], v75 offset0:96 offset1:208
	v_fma_f32 v7, v22, v7, -v0
	v_add_f32_e32 v22, v2, v89
	v_add_f32_e32 v0, v40, v42
	v_fmamk_f32 v24, v1, 0xbf5db3d7, v20
	v_add_f32_e32 v2, v32, v40
	v_fmac_f32_e32 v20, 0x3f5db3d7, v1
	v_add_f32_e32 v1, v41, v37
	v_fma_f32 v21, -0.5, v0, v32
	v_sub_f32_e32 v0, v88, v89
	v_add_f32_e32 v23, v2, v42
	v_add_f32_e32 v2, v33, v41
	v_fma_f32 v33, -0.5, v1, v33
	v_sub_f32_e32 v1, v36, v38
	v_fmamk_f32 v25, v0, 0x3f5db3d7, v21
	v_fmac_f32_e32 v21, 0xbf5db3d7, v0
	v_add_f32_e32 v26, v2, v37
	v_add_f32_e32 v0, v36, v38
	v_fmamk_f32 v28, v1, 0xbf5db3d7, v33
	v_add_f32_e32 v2, v34, v36
	v_fmac_f32_e32 v33, 0x3f5db3d7, v1
	v_add_f32_e32 v1, v39, v43
	v_fmac_f32_e32 v34, -0.5, v0
	v_sub_f32_e32 v0, v41, v37
	v_add_f32_e32 v27, v2, v38
	s_waitcnt lgkmcnt(0)
	v_add_f32_e32 v2, v3, v39
	v_fma_f32 v30, -0.5, v1, v3
	v_sub_f32_e32 v1, v76, v80
	v_fmamk_f32 v29, v0, 0x3f5db3d7, v34
	v_fmac_f32_e32 v34, 0xbf5db3d7, v0
	v_add_f32_e32 v35, v2, v43
	v_add_f32_e32 v31, v76, v80
	v_fmamk_f32 v37, v1, 0xbf5db3d7, v30
	v_fmac_f32_e32 v30, 0x3f5db3d7, v1
	ds_read2_b64 v[0:3], v74 offset0:64 offset1:176
	v_add_f32_e32 v36, v4, v76
	v_fma_f32 v31, -0.5, v31, v4
	v_sub_f32_e32 v4, v39, v43
	v_add_f32_e32 v32, v77, v81
	v_add_f32_e32 v40, v5, v77
	v_add_f32_e32 v41, v82, v84
	v_add_f32_e32 v36, v36, v80
	v_fmamk_f32 v38, v4, 0x3f5db3d7, v31
	v_fmac_f32_e32 v31, 0xbf5db3d7, v4
	v_add_f32_e32 v4, v6, v82
	v_fma_f32 v5, -0.5, v32, v5
	v_sub_f32_e32 v32, v82, v84
	v_fmac_f32_e32 v6, -0.5, v41
	v_sub_f32_e32 v75, v86, v90
	v_add_f32_e32 v42, v4, v84
	v_add_f32_e32 v4, v83, v85
	v_fmamk_f32 v39, v32, 0xbf5db3d7, v5
	v_fmac_f32_e32 v5, 0x3f5db3d7, v32
	v_sub_f32_e32 v32, v77, v81
	s_waitcnt lgkmcnt(0)
	v_add_f32_e32 v43, v0, v83
	v_fma_f32 v0, -0.5, v4, v0
	v_add_f32_e32 v4, v86, v90
	v_add_f32_e32 v74, v1, v86
	;; [unrolled: 1-line block ×5, first 2 shown]
	v_fma_f32 v1, -0.5, v4, v1
	v_add_f32_e32 v4, v87, v91
	v_add_f32_e32 v41, v40, v81
	v_fmamk_f32 v40, v32, 0x3f5db3d7, v6
	v_fmac_f32_e32 v6, 0xbf5db3d7, v32
	v_fmamk_f32 v82, v75, 0xbf5db3d7, v0
	v_fmac_f32_e32 v0, 0x3f5db3d7, v75
	v_add_f32_e32 v32, v2, v87
	v_sub_f32_e32 v76, v83, v85
	v_fma_f32 v2, -0.5, v4, v2
	v_add_f32_e32 v75, v43, v7
	v_sub_f32_e32 v4, v92, v7
	v_fmac_f32_e32 v3, -0.5, v77
	v_sub_f32_e32 v7, v87, v91
	v_add_f32_e32 v81, v74, v90
	v_add_f32_e32 v74, v32, v91
	v_fmamk_f32 v83, v76, 0x3f5db3d7, v1
	v_fmac_f32_e32 v1, 0xbf5db3d7, v76
	v_fmamk_f32 v76, v4, 0xbf5db3d7, v2
	v_fmac_f32_e32 v2, 0x3f5db3d7, v4
	;; [unrolled: 2-line block ×3, first 2 shown]
	s_barrier
	buffer_gl0_inv
	ds_write2_b64 v224, v[22:23], v[24:25] offset1:96
	ds_write_b64 v224, v[20:21] offset:1536
	ds_write2_b64 v225, v[26:27], v[28:29] offset1:96
	ds_write_b64 v225, v[33:34] offset:1536
	;; [unrolled: 2-line block ×6, first 2 shown]
	v_add_nc_u32_e32 v20, 0x800, v164
	v_add_nc_u32_e32 v21, 0x1000, v164
	s_waitcnt lgkmcnt(0)
	s_barrier
	buffer_gl0_inv
	ds_read2_b64 v[4:7], v164 offset1:112
	ds_read2_b64 v[32:35], v20 offset0:32 offset1:144
	v_add_nc_u32_e32 v20, 0x2c00, v164
	v_add_nc_u32_e32 v28, 0x3400, v164
	ds_read2_b64 v[40:43], v21 offset0:64 offset1:176
	ds_read2_b64 v[36:39], v78 offset0:96 offset1:208
	;; [unrolled: 1-line block ×5, first 2 shown]
	s_and_saveexec_b32 s0, vcc_lo
	s_cbranch_execz .LBB0_7
; %bb.6:
	ds_read_b64 v[0:1], v164 offset:1792
	ds_read_b64 v[74:75], v164 offset:4096
	;; [unrolled: 1-line block ×7, first 2 shown]
.LBB0_7:
	s_or_b32 exec_lo, exec_lo, s0
	s_waitcnt lgkmcnt(5)
	v_mul_f32_e32 v78, v65, v33
	v_mul_f32_e32 v65, v65, v32
	s_waitcnt lgkmcnt(4)
	v_mul_f32_e32 v79, v67, v41
	v_mul_f32_e32 v67, v67, v40
	v_fmac_f32_e32 v78, v64, v32
	v_fma_f32 v32, v64, v33, -v65
	v_fmac_f32_e32 v79, v66, v40
	v_fma_f32 v33, v66, v41, -v67
	s_waitcnt lgkmcnt(3)
	v_mul_f32_e32 v40, v57, v37
	v_mul_f32_e32 v41, v57, v36
	s_waitcnt lgkmcnt(2)
	v_mul_f32_e32 v57, v59, v25
	v_mul_f32_e32 v59, v59, v24
	s_waitcnt lgkmcnt(1)
	v_mul_f32_e32 v64, v45, v21
	v_fmac_f32_e32 v40, v56, v36
	v_fma_f32 v36, v56, v37, -v41
	v_fmac_f32_e32 v57, v58, v24
	v_fma_f32 v24, v58, v25, -v59
	v_fmac_f32_e32 v64, v44, v20
	v_mul_f32_e32 v20, v45, v20
	s_waitcnt lgkmcnt(0)
	v_mul_f32_e32 v25, v47, v29
	v_mul_f32_e32 v37, v47, v28
	;; [unrolled: 1-line block ×4, first 2 shown]
	v_fma_f32 v20, v44, v21, -v20
	v_fmac_f32_e32 v25, v46, v28
	v_fma_f32 v21, v46, v29, -v37
	v_fmac_f32_e32 v41, v60, v34
	v_fma_f32 v34, v60, v35, -v45
	v_mul_f32_e32 v35, v63, v43
	v_mul_f32_e32 v28, v63, v42
	;; [unrolled: 1-line block ×5, first 2 shown]
	v_fmac_f32_e32 v35, v62, v42
	v_fma_f32 v42, v62, v43, -v28
	v_fmac_f32_e32 v37, v52, v38
	v_fma_f32 v38, v52, v39, -v29
	v_fmac_f32_e32 v44, v54, v26
	v_mul_f32_e32 v26, v55, v26
	v_mul_f32_e32 v39, v49, v23
	;; [unrolled: 1-line block ×5, first 2 shown]
	v_fma_f32 v45, v54, v27, -v26
	v_fmac_f32_e32 v39, v48, v22
	v_fma_f32 v46, v48, v23, -v28
	v_add_f32_e32 v22, v78, v25
	v_add_f32_e32 v23, v32, v21
	;; [unrolled: 1-line block ×4, first 2 shown]
	v_fmac_f32_e32 v43, v50, v30
	v_fma_f32 v47, v50, v31, -v29
	v_sub_f32_e32 v25, v78, v25
	v_sub_f32_e32 v21, v32, v21
	;; [unrolled: 1-line block ×4, first 2 shown]
	v_add_f32_e32 v29, v40, v57
	v_add_f32_e32 v30, v36, v24
	v_sub_f32_e32 v31, v57, v40
	v_sub_f32_e32 v24, v24, v36
	v_add_f32_e32 v32, v26, v22
	v_add_f32_e32 v33, v27, v23
	v_sub_f32_e32 v36, v26, v22
	v_sub_f32_e32 v40, v27, v23
	;; [unrolled: 1-line block ×6, first 2 shown]
	v_add_f32_e32 v48, v31, v28
	v_add_f32_e32 v49, v24, v20
	v_sub_f32_e32 v50, v31, v28
	v_sub_f32_e32 v51, v24, v20
	;; [unrolled: 1-line block ×3, first 2 shown]
	v_add_f32_e32 v29, v29, v32
	v_add_f32_e32 v30, v30, v33
	v_sub_f32_e32 v20, v20, v21
	v_sub_f32_e32 v31, v25, v31
	;; [unrolled: 1-line block ×3, first 2 shown]
	v_add_f32_e32 v25, v48, v25
	v_add_f32_e32 v21, v49, v21
	;; [unrolled: 1-line block ×4, first 2 shown]
	v_mul_f32_e32 v22, 0x3f4a47b2, v22
	v_mul_f32_e32 v23, 0x3f4a47b2, v23
	;; [unrolled: 1-line block ×8, first 2 shown]
	v_fmamk_f32 v29, v29, 0xbf955555, v4
	v_fmamk_f32 v30, v30, 0xbf955555, v5
	;; [unrolled: 1-line block ×4, first 2 shown]
	v_fma_f32 v32, 0x3f3bfb3b, v36, -v32
	v_fma_f32 v33, 0x3f3bfb3b, v40, -v33
	;; [unrolled: 1-line block ×4, first 2 shown]
	v_fmamk_f32 v36, v31, 0xbeae86e6, v48
	v_fmamk_f32 v40, v24, 0xbeae86e6, v49
	v_fma_f32 v28, 0xbf5ff5aa, v28, -v48
	v_fma_f32 v48, 0xbf5ff5aa, v20, -v49
	;; [unrolled: 1-line block ×4, first 2 shown]
	v_add_f32_e32 v50, v26, v29
	v_add_f32_e32 v51, v27, v30
	;; [unrolled: 1-line block ×6, first 2 shown]
	v_fmac_f32_e32 v36, 0xbee1c552, v25
	v_fmac_f32_e32 v40, 0xbee1c552, v21
	;; [unrolled: 1-line block ×6, first 2 shown]
	v_add_f32_e32 v20, v40, v50
	v_sub_f32_e32 v21, v51, v36
	v_add_f32_e32 v22, v49, v29
	v_sub_f32_e32 v23, v30, v31
	;; [unrolled: 2-line block ×3, first 2 shown]
	v_sub_f32_e32 v28, v29, v49
	v_add_f32_e32 v29, v31, v30
	v_sub_f32_e32 v30, v50, v40
	v_add_f32_e32 v31, v36, v51
	v_add_f32_e32 v32, v41, v43
	;; [unrolled: 1-line block ×3, first 2 shown]
	v_sub_f32_e32 v36, v41, v43
	v_add_f32_e32 v40, v35, v39
	v_add_f32_e32 v41, v42, v46
	v_sub_f32_e32 v34, v34, v47
	v_sub_f32_e32 v35, v35, v39
	v_sub_f32_e32 v39, v42, v46
	v_add_f32_e32 v42, v37, v44
	v_add_f32_e32 v43, v38, v45
	v_sub_f32_e32 v37, v44, v37
	v_sub_f32_e32 v38, v45, v38
	v_add_f32_e32 v44, v40, v32
	v_add_f32_e32 v45, v41, v33
	v_sub_f32_e32 v24, v26, v48
	v_add_f32_e32 v26, v48, v26
	v_sub_f32_e32 v46, v40, v32
	v_sub_f32_e32 v47, v41, v33
	;; [unrolled: 1-line block ×6, first 2 shown]
	v_add_f32_e32 v48, v37, v35
	v_add_f32_e32 v49, v38, v39
	v_sub_f32_e32 v50, v37, v35
	v_sub_f32_e32 v51, v38, v39
	v_sub_f32_e32 v35, v35, v36
	v_add_f32_e32 v42, v42, v44
	v_add_f32_e32 v43, v43, v45
	v_sub_f32_e32 v39, v39, v34
	v_sub_f32_e32 v37, v36, v37
	;; [unrolled: 1-line block ×3, first 2 shown]
	v_add_f32_e32 v36, v48, v36
	v_add_f32_e32 v34, v49, v34
	;; [unrolled: 1-line block ×4, first 2 shown]
	v_mul_f32_e32 v32, 0x3f4a47b2, v32
	v_mul_f32_e32 v33, 0x3f4a47b2, v33
	;; [unrolled: 1-line block ×8, first 2 shown]
	v_fmamk_f32 v42, v42, 0xbf955555, v6
	v_fmamk_f32 v43, v43, 0xbf955555, v7
	;; [unrolled: 1-line block ×4, first 2 shown]
	v_fma_f32 v44, 0x3f3bfb3b, v46, -v44
	v_fma_f32 v45, 0x3f3bfb3b, v47, -v45
	v_fma_f32 v32, 0xbf3bfb3b, v46, -v32
	v_fma_f32 v33, 0xbf3bfb3b, v47, -v33
	v_fmamk_f32 v46, v37, 0xbeae86e6, v48
	v_fmamk_f32 v47, v38, 0xbeae86e6, v49
	v_fma_f32 v48, 0xbf5ff5aa, v35, -v48
	v_fma_f32 v39, 0xbf5ff5aa, v39, -v49
	;; [unrolled: 1-line block ×4, first 2 shown]
	v_add_f32_e32 v51, v40, v42
	v_add_f32_e32 v52, v41, v43
	;; [unrolled: 1-line block ×6, first 2 shown]
	v_fmac_f32_e32 v46, 0xbee1c552, v36
	v_fmac_f32_e32 v47, 0xbee1c552, v34
	;; [unrolled: 1-line block ×6, first 2 shown]
	v_add_f32_e32 v32, v47, v51
	v_sub_f32_e32 v33, v52, v46
	v_add_f32_e32 v34, v50, v41
	v_sub_f32_e32 v35, v42, v49
	v_sub_f32_e32 v36, v38, v39
	v_add_f32_e32 v37, v48, v40
	v_add_f32_e32 v38, v39, v38
	v_sub_f32_e32 v39, v40, v48
	v_sub_f32_e32 v40, v41, v50
	v_add_f32_e32 v41, v49, v42
	v_sub_f32_e32 v42, v51, v47
	v_add_f32_e32 v43, v46, v52
	ds_write_b64 v164, v[4:5]
	ds_write_b64 v218, v[20:21] offset:2304
	ds_write_b64 v218, v[22:23] offset:4608
	;; [unrolled: 1-line block ×13, first 2 shown]
	s_and_saveexec_b32 s0, vcc_lo
	s_cbranch_execz .LBB0_9
; %bb.8:
	v_mul_f32_e32 v5, v9, v3
	v_mul_f32_e32 v6, v13, v75
	;; [unrolled: 1-line block ×10, first 2 shown]
	v_fmac_f32_e32 v5, v8, v2
	v_fmac_f32_e32 v6, v12, v74
	;; [unrolled: 1-line block ×3, first 2 shown]
	v_fma_f32 v18, v18, v73, -v19
	v_fma_f32 v12, v12, v75, -v13
	v_mul_f32_e32 v2, v9, v2
	v_mul_f32_e32 v9, v11, v68
	v_fma_f32 v11, v16, v71, -v17
	v_fma_f32 v13, v14, v77, -v15
	v_fmac_f32_e32 v20, v14, v76
	v_fmac_f32_e32 v22, v16, v70
	v_fma_f32 v2, v8, v3, -v2
	v_fma_f32 v3, v10, v69, -v9
	v_add_f32_e32 v8, v18, v12
	v_add_f32_e32 v9, v11, v13
	v_fmac_f32_e32 v4, v10, v68
	v_sub_f32_e32 v15, v6, v7
	v_add_f32_e32 v14, v2, v3
	v_add_f32_e32 v6, v7, v6
	;; [unrolled: 1-line block ×4, first 2 shown]
	v_sub_f32_e32 v21, v4, v5
	v_sub_f32_e32 v19, v8, v14
	v_add_f32_e32 v4, v5, v4
	v_add_f32_e32 v16, v14, v16
	;; [unrolled: 1-line block ×3, first 2 shown]
	v_sub_f32_e32 v14, v14, v9
	v_mul_f32_e32 v19, 0x3f4a47b2, v19
	v_sub_f32_e32 v11, v13, v11
	v_add_f32_e32 v1, v1, v16
	v_add_f32_e32 v5, v4, v5
	v_sub_f32_e32 v12, v12, v18
	v_fmamk_f32 v25, v14, 0x3d64c772, v19
	v_sub_f32_e32 v10, v20, v22
	v_fmamk_f32 v16, v16, 0xbf955555, v1
	v_add_f32_e32 v0, v0, v5
	v_sub_f32_e32 v2, v3, v2
	v_sub_f32_e32 v13, v6, v4
	;; [unrolled: 1-line block ×3, first 2 shown]
	v_add_f32_e32 v20, v25, v16
	v_fmamk_f32 v25, v5, 0xbf955555, v0
	v_sub_f32_e32 v5, v11, v12
	v_sub_f32_e32 v18, v2, v11
	;; [unrolled: 1-line block ×3, first 2 shown]
	v_add_f32_e32 v21, v21, v10
	v_sub_f32_e32 v22, v12, v2
	v_add_f32_e32 v2, v2, v11
	v_sub_f32_e32 v10, v10, v15
	v_mul_f32_e32 v14, 0x3d64c772, v14
	v_mul_f32_e32 v13, 0x3f4a47b2, v13
	v_sub_f32_e32 v4, v4, v7
	v_sub_f32_e32 v8, v9, v8
	;; [unrolled: 1-line block ×3, first 2 shown]
	v_mul_f32_e32 v7, 0xbf5ff5aa, v5
	v_mul_f32_e32 v17, 0x3f08b237, v17
	;; [unrolled: 1-line block ×3, first 2 shown]
	v_add_f32_e32 v27, v2, v12
	v_mul_f32_e32 v2, 0xbf5ff5aa, v10
	v_add_f32_e32 v21, v21, v15
	v_fmamk_f32 v15, v4, 0x3d64c772, v13
	v_mul_f32_e32 v4, 0x3d64c772, v4
	v_fma_f32 v9, 0xbf3bfb3b, v8, -v19
	v_fma_f32 v19, 0x3eae86e6, v22, -v7
	;; [unrolled: 1-line block ×3, first 2 shown]
	v_fmamk_f32 v24, v23, 0xbeae86e6, v17
	v_fmamk_f32 v26, v22, 0xbeae86e6, v18
	v_fma_f32 v11, 0x3eae86e6, v23, -v2
	v_fma_f32 v12, 0xbf3bfb3b, v6, -v13
	;; [unrolled: 1-line block ×3, first 2 shown]
	v_add_f32_e32 v10, v9, v16
	v_add_f32_e32 v9, v7, v16
	v_fma_f32 v16, 0xbf5ff5aa, v5, -v18
	v_fma_f32 v6, 0x3f3bfb3b, v6, -v4
	v_fmac_f32_e32 v24, 0xbee1c552, v21
	v_add_f32_e32 v15, v15, v25
	v_fmac_f32_e32 v26, 0xbee1c552, v27
	v_fmac_f32_e32 v11, 0xbee1c552, v21
	v_add_f32_e32 v14, v12, v25
	v_fmac_f32_e32 v19, 0xbee1c552, v27
	v_fmac_f32_e32 v8, 0xbee1c552, v21
	;; [unrolled: 1-line block ×3, first 2 shown]
	v_add_f32_e32 v6, v6, v25
	v_sub_f32_e32 v13, v20, v24
	v_add_f32_e32 v12, v26, v15
	v_add_f32_e32 v5, v11, v10
	v_sub_f32_e32 v11, v10, v11
	v_add_f32_e32 v10, v19, v14
	v_sub_f32_e32 v7, v9, v8
	;; [unrolled: 2-line block ×3, first 2 shown]
	v_add_f32_e32 v6, v16, v6
	v_add_f32_e32 v3, v24, v20
	v_sub_f32_e32 v2, v15, v26
	v_sub_f32_e32 v4, v14, v19
	ds_write_b64 v164, v[0:1] offset:1792
	ds_write_b64 v218, v[12:13] offset:4096
	;; [unrolled: 1-line block ×7, first 2 shown]
.LBB0_9:
	s_or_b32 exec_lo, exec_lo, s0
	v_add_nc_u32_e32 v0, 0x1800, v164
	s_waitcnt lgkmcnt(0)
	s_barrier
	buffer_gl0_inv
	ds_read2_b64 v[4:7], v164 offset1:112
	ds_read2_b64 v[0:3], v0 offset0:128 offset1:240
	v_add_nc_u32_e32 v8, 0x2000, v164
	v_add_nc_u32_e32 v12, 0x400, v164
	v_mad_u64_u32 v[16:17], null, s10, v98, 0
	v_mad_u64_u32 v[18:19], null, s8, v163, 0
	ds_read2_b64 v[8:11], v8 offset0:96 offset1:208
	ds_read2_b64 v[12:15], v12 offset0:96 offset1:208
	s_mov_b32 s0, 0x10410410
	s_mov_b32 s1, 0x3f404104
	s_mul_i32 s4, s9, 0x1f80
	s_mul_hi_u32 s6, s8, 0x1f80
	s_mul_i32 s5, s8, 0x1f80
	s_add_i32 s4, s6, s4
	s_waitcnt lgkmcnt(3)
	v_mul_f32_e32 v20, v130, v5
	v_mul_f32_e32 v21, v130, v4
	s_waitcnt lgkmcnt(2)
	v_mul_f32_e32 v24, v132, v2
	v_mul_f32_e32 v23, v132, v3
	;; [unrolled: 1-line block ×3, first 2 shown]
	v_fmac_f32_e32 v20, v129, v4
	v_fma_f32 v4, v129, v5, -v21
	v_fma_f32 v21, v131, v3, -v24
	v_fmac_f32_e32 v23, v131, v2
	v_mul_f32_e32 v25, v128, v7
	v_cvt_f64_f32_e32 v[2:3], v20
	v_cvt_f64_f32_e32 v[4:5], v4
	;; [unrolled: 1-line block ×3, first 2 shown]
	v_fma_f32 v26, v127, v7, -v22
	v_fmac_f32_e32 v25, v127, v6
	v_cvt_f64_f32_e32 v[6:7], v23
	v_mad_u64_u32 v[22:23], null, s11, v98, v[17:18]
	v_cvt_f64_f32_e32 v[26:27], v26
	s_waitcnt lgkmcnt(0)
	v_mul_f32_e32 v28, v118, v13
	v_mul_f32_e32 v29, v118, v12
	v_mov_b32_e32 v17, v22
	v_mul_f32_e32 v22, v124, v9
	v_fmac_f32_e32 v28, v117, v12
	v_fma_f32 v29, v117, v13, -v29
	v_lshlrev_b64 v[16:17], 3, v[16:17]
	v_fmac_f32_e32 v22, v123, v8
	v_mul_f64 v[2:3], v[2:3], s[0:1]
	v_mul_f64 v[4:5], v[4:5], s[0:1]
	v_mad_u64_u32 v[23:24], null, s9, v163, v[19:20]
	v_cvt_f64_f32_e32 v[24:25], v25
	v_add_co_u32 v44, vcc_lo, s2, v16
	v_mul_f64 v[6:7], v[6:7], s[0:1]
	v_mul_f64 v[12:13], v[26:27], s[0:1]
	v_add_co_ci_u32_e32 v45, vcc_lo, s3, v17, vcc_lo
	v_mov_b32_e32 v19, v23
	v_mul_f32_e32 v23, v124, v8
	v_cvt_f64_f32_e32 v[16:17], v22
	v_cvt_f64_f32_e32 v[26:27], v29
	v_mul_f64 v[20:21], v[20:21], s[0:1]
	v_lshlrev_b64 v[18:19], 3, v[18:19]
	v_fma_f32 v23, v123, v9, -v23
	s_mul_hi_u32 s2, s8, 0xffffe400
	s_mul_i32 s3, s9, 0xffffe400
	s_sub_i32 s2, s2, s8
	v_cvt_f64_f32_e32 v[22:23], v23
	v_cvt_f32_f64_e32 v29, v[4:5]
	v_mul_f32_e32 v4, v134, v15
	v_mul_f32_e32 v5, v134, v14
	v_mul_f64 v[8:9], v[24:25], s[0:1]
	v_cvt_f64_f32_e32 v[24:25], v28
	v_cvt_f32_f64_e32 v28, v[2:3]
	v_mul_f32_e32 v2, v114, v11
	v_mul_f32_e32 v3, v114, v10
	v_cvt_f32_f64_e32 v30, v[6:7]
	v_fmac_f32_e32 v4, v133, v14
	v_add_nc_u32_e32 v6, 0x2800, v164
	v_fmac_f32_e32 v2, v113, v10
	v_fma_f32 v3, v113, v11, -v3
	v_cvt_f32_f64_e32 v33, v[12:13]
	v_mul_f64 v[12:13], v[16:17], s[0:1]
	v_cvt_f32_f64_e32 v31, v[20:21]
	v_fma_f32 v7, v133, v15, -v5
	v_cvt_f64_f32_e32 v[10:11], v2
	v_cvt_f64_f32_e32 v[14:15], v3
	v_add_co_u32 v18, vcc_lo, v44, v18
	v_mul_f64 v[16:17], v[22:23], s[0:1]
	v_cvt_f64_f32_e32 v[34:35], v7
	v_add_co_ci_u32_e32 v19, vcc_lo, v45, v19, vcc_lo
	v_cvt_f32_f64_e32 v32, v[8:9]
	v_mul_f64 v[22:23], v[24:25], s[0:1]
	v_mul_f64 v[24:25], v[26:27], s[0:1]
	v_cvt_f64_f32_e32 v[26:27], v4
	ds_read2_b64 v[2:5], v6 offset0:64 offset1:176
	v_add_nc_u32_e32 v6, 0xc00, v164
	v_add_co_u32 v20, vcc_lo, v18, s5
	v_add_co_ci_u32_e32 v21, vcc_lo, s4, v19, vcc_lo
	ds_read2_b64 v[6:9], v6 offset0:64 offset1:176
	s_add_i32 s2, s2, s3
	s_mul_i32 s3, s8, 0xffffe400
	v_cvt_f32_f64_e32 v12, v[12:13]
	v_add_co_u32 v36, vcc_lo, v20, s3
	v_add_co_ci_u32_e32 v37, vcc_lo, s2, v21, vcc_lo
	v_cvt_f32_f64_e32 v13, v[16:17]
	global_store_dwordx2 v[18:19], v[28:29], off
	global_store_dwordx2 v[20:21], v[30:31], off
	global_store_dwordx2 v[36:37], v[32:33], off
	v_add_co_u32 v16, vcc_lo, v36, s5
	v_add_co_ci_u32_e32 v17, vcc_lo, s4, v37, vcc_lo
	v_cvt_f32_f64_e32 v19, v[24:25]
	s_waitcnt lgkmcnt(1)
	v_mul_f32_e32 v24, v126, v3
	v_mul_f64 v[20:21], v[26:27], s[0:1]
	v_mul_f32_e32 v30, v120, v5
	v_cvt_f32_f64_e32 v18, v[22:23]
	s_waitcnt lgkmcnt(0)
	v_mul_f32_e32 v27, v122, v6
	v_fmac_f32_e32 v24, v125, v2
	v_mul_f32_e32 v2, v126, v2
	v_mul_f32_e32 v26, v122, v7
	v_fmac_f32_e32 v30, v119, v4
	v_mul_f32_e32 v4, v120, v4
	v_mul_f64 v[14:15], v[14:15], s[0:1]
	v_fma_f32 v2, v125, v3, -v2
	v_fma_f32 v3, v121, v7, -v27
	v_fmac_f32_e32 v26, v121, v6
	v_add_co_u32 v32, vcc_lo, v16, s3
	v_cvt_f64_f32_e32 v[6:7], v2
	v_cvt_f64_f32_e32 v[28:29], v3
	v_fma_f32 v2, v119, v5, -v4
	v_add_nc_u32_e32 v3, 0x3000, v164
	v_add_co_ci_u32_e32 v33, vcc_lo, s2, v17, vcc_lo
	global_store_dwordx2 v[16:17], v[12:13], off
	v_cvt_f64_f32_e32 v[16:17], v2
	ds_read2_b64 v[2:5], v3 offset0:32 offset1:144
	v_mul_f64 v[10:11], v[10:11], s[0:1]
	v_mul_f64 v[22:23], v[34:35], s[0:1]
	v_cvt_f64_f32_e32 v[24:25], v24
	v_cvt_f64_f32_e32 v[26:27], v26
	;; [unrolled: 1-line block ×3, first 2 shown]
	v_add_nc_u32_e32 v12, 0x1400, v164
	global_store_dwordx2 v[32:33], v[18:19], off
	v_cvt_f32_f64_e32 v19, v[14:15]
	v_add_co_u32 v14, vcc_lo, v32, s5
	v_add_co_ci_u32_e32 v15, vcc_lo, s4, v33, vcc_lo
	v_mul_f32_e32 v32, v116, v9
	v_mul_f32_e32 v33, v116, v8
	v_cvt_f32_f64_e32 v20, v[20:21]
	v_mul_f64 v[6:7], v[6:7], s[0:1]
	v_fmac_f32_e32 v32, v115, v8
	s_waitcnt lgkmcnt(0)
	v_mul_f32_e32 v34, v112, v3
	v_mul_f32_e32 v39, v108, v4
	;; [unrolled: 1-line block ×3, first 2 shown]
	v_cvt_f32_f64_e32 v18, v[10:11]
	ds_read2_b64 v[10:13], v12 offset0:32 offset1:144
	v_cvt_f32_f64_e32 v21, v[22:23]
	v_mul_f64 v[22:23], v[24:25], s[0:1]
	v_mul_f64 v[24:25], v[26:27], s[0:1]
	;; [unrolled: 1-line block ×4, first 2 shown]
	v_fma_f32 v30, v115, v9, -v33
	v_mul_f32_e32 v33, v112, v2
	v_fmac_f32_e32 v34, v111, v2
	v_mul_f64 v[8:9], v[16:17], s[0:1]
	v_cvt_f64_f32_e32 v[16:17], v32
	v_cvt_f64_f32_e32 v[30:31], v30
	v_fma_f32 v35, v111, v3, -v33
	v_cvt_f64_f32_e32 v[2:3], v34
	v_fmac_f32_e32 v38, v107, v4
	v_add_co_u32 v32, vcc_lo, v14, s3
	v_add_co_ci_u32_e32 v33, vcc_lo, s2, v15, vcc_lo
	s_waitcnt lgkmcnt(0)
	v_mul_f32_e32 v36, v110, v11
	v_mul_f32_e32 v37, v110, v10
	v_cvt_f32_f64_e32 v22, v[22:23]
	v_fmac_f32_e32 v36, v109, v10
	v_fma_f32 v34, v109, v11, -v37
	v_cvt_f64_f32_e32 v[10:11], v35
	v_cvt_f32_f64_e32 v24, v[24:25]
	v_cvt_f32_f64_e32 v25, v[26:27]
	;; [unrolled: 1-line block ×4, first 2 shown]
	v_mul_f64 v[8:9], v[16:17], s[0:1]
	v_mul_f64 v[16:17], v[30:31], s[0:1]
	v_cvt_f64_f32_e32 v[6:7], v36
	v_mul_f64 v[30:31], v[2:3], s[0:1]
	v_fma_f32 v2, v107, v5, -v39
	v_add_nc_u32_e32 v3, 0x3800, v164
	v_cvt_f64_f32_e32 v[34:35], v34
	v_cvt_f32_f64_e32 v26, v[28:29]
	v_add_co_u32 v36, vcc_lo, v32, s5
	v_cvt_f64_f32_e32 v[40:41], v2
	ds_read2_b64 v[2:5], v3 offset1:112
	v_add_co_ci_u32_e32 v37, vcc_lo, s4, v33, vcc_lo
	v_add_co_u32 v28, vcc_lo, v36, s3
	v_cvt_f64_f32_e32 v[38:39], v38
	v_add_co_ci_u32_e32 v29, vcc_lo, s2, v37, vcc_lo
	v_mul_f64 v[10:11], v[10:11], s[0:1]
	v_add_co_u32 v42, vcc_lo, v28, s5
	v_add_co_ci_u32_e32 v43, vcc_lo, s4, v29, vcc_lo
	v_mul_f64 v[6:7], v[6:7], s[0:1]
	global_store_dwordx2 v[14:15], v[18:19], off
	global_store_dwordx2 v[32:33], v[20:21], off
	;; [unrolled: 1-line block ×5, first 2 shown]
	v_mul_f32_e32 v24, v102, v1
	v_mul_f32_e32 v20, v106, v13
	v_mul_f64 v[34:35], v[34:35], s[0:1]
	v_mul_f32_e32 v25, v102, v0
	v_cvt_f32_f64_e32 v8, v[8:9]
	s_waitcnt lgkmcnt(0)
	v_mul_f32_e32 v22, v100, v3
	v_fmac_f32_e32 v24, v101, v0
	v_fmac_f32_e32 v20, v105, v12
	v_fma_f32 v25, v101, v1, -v25
	v_mul_f32_e32 v12, v106, v12
	v_fmac_f32_e32 v22, v99, v2
	v_mul_f32_e32 v2, v100, v2
	v_cvt_f32_f64_e32 v9, v[16:17]
	v_cvt_f64_f32_e32 v[20:21], v20
	v_mul_f32_e32 v26, v104, v5
	v_cvt_f32_f64_e32 v17, v[10:11]
	v_fma_f32 v2, v99, v3, -v2
	v_mul_f64 v[10:11], v[38:39], s[0:1]
	v_mul_f32_e32 v27, v104, v4
	v_cvt_f32_f64_e32 v16, v[30:31]
	v_cvt_f32_f64_e32 v6, v[6:7]
	v_cvt_f64_f32_e32 v[0:1], v2
	v_cvt_f64_f32_e32 v[2:3], v24
	;; [unrolled: 1-line block ×3, first 2 shown]
	v_cvt_f32_f64_e32 v7, v[34:35]
	v_fma_f32 v12, v105, v13, -v12
	v_fmac_f32_e32 v26, v103, v4
	v_fma_f32 v28, v103, v5, -v27
	v_add_co_u32 v14, vcc_lo, v42, s3
	v_cvt_f64_f32_e32 v[12:13], v12
	v_cvt_f64_f32_e32 v[22:23], v22
	v_add_co_ci_u32_e32 v15, vcc_lo, s2, v43, vcc_lo
	v_mul_f64 v[18:19], v[40:41], s[0:1]
	v_cvt_f64_f32_e32 v[26:27], v26
	v_cvt_f64_f32_e32 v[28:29], v28
	v_add_co_u32 v4, vcc_lo, v14, s5
	v_add_co_ci_u32_e32 v5, vcc_lo, s4, v15, vcc_lo
	v_mul_f64 v[20:21], v[20:21], s[0:1]
	v_add_co_u32 v30, vcc_lo, v4, s3
	v_add_co_ci_u32_e32 v31, vcc_lo, s2, v5, vcc_lo
	v_mul_f64 v[2:3], v[2:3], s[0:1]
	global_store_dwordx2 v[14:15], v[8:9], off
	global_store_dwordx2 v[4:5], v[16:17], off
	;; [unrolled: 1-line block ×3, first 2 shown]
	v_cvt_f32_f64_e32 v4, v[10:11]
	v_mul_f64 v[9:10], v[24:25], s[0:1]
	v_mul_f64 v[0:1], v[0:1], s[0:1]
	v_mad_u64_u32 v[32:33], null, s8, v161, 0
	v_mul_f64 v[12:13], v[12:13], s[0:1]
	v_mul_f64 v[6:7], v[22:23], s[0:1]
	v_mad_u64_u32 v[14:15], null, s8, v162, 0
	v_cvt_f32_f64_e32 v5, v[18:19]
	v_mul_f64 v[16:17], v[26:27], s[0:1]
	v_mul_f64 v[18:19], v[28:29], s[0:1]
	v_mov_b32_e32 v8, v33
	v_add_co_u32 v22, vcc_lo, v30, s5
	v_cvt_f32_f64_e32 v11, v[20:21]
	v_add_co_ci_u32_e32 v23, vcc_lo, s4, v31, vcc_lo
	v_add_co_u32 v24, vcc_lo, v22, s3
	v_cvt_f32_f64_e32 v2, v[2:3]
	v_add_co_ci_u32_e32 v25, vcc_lo, s2, v23, vcc_lo
	v_mad_u64_u32 v[20:21], null, s9, v161, v[8:9]
	v_mov_b32_e32 v8, v15
	v_cvt_f32_f64_e32 v3, v[9:10]
	v_cvt_f32_f64_e32 v12, v[12:13]
	;; [unrolled: 1-line block ×4, first 2 shown]
	v_mad_u64_u32 v[26:27], null, s9, v162, v[8:9]
	v_mov_b32_e32 v33, v20
	v_cvt_f32_f64_e32 v8, v[16:17]
	v_cvt_f32_f64_e32 v9, v[18:19]
	v_mad_u64_u32 v[0:1], null, 0x2300, s8, v[24:25]
	global_store_dwordx2 v[22:23], v[4:5], off
	v_mov_b32_e32 v15, v26
	v_lshlrev_b64 v[4:5], 3, v[32:33]
	v_lshlrev_b64 v[13:14], 3, v[14:15]
	v_mad_u64_u32 v[15:16], null, 0x2300, s9, v[1:2]
	v_add_co_u32 v4, vcc_lo, v44, v4
	v_add_co_ci_u32_e32 v5, vcc_lo, v45, v5, vcc_lo
	v_add_co_u32 v13, vcc_lo, v44, v13
	v_add_co_ci_u32_e32 v14, vcc_lo, v45, v14, vcc_lo
	v_mov_b32_e32 v1, v15
	global_store_dwordx2 v[24:25], v[11:12], off
	global_store_dwordx2 v[4:5], v[6:7], off
	;; [unrolled: 1-line block ×4, first 2 shown]
.LBB0_10:
	s_endpgm
	.section	.rodata,"a",@progbits
	.p2align	6, 0x0
	.amdhsa_kernel bluestein_single_fwd_len2016_dim1_sp_op_CI_CI
		.amdhsa_group_segment_fixed_size 32256
		.amdhsa_private_segment_fixed_size 0
		.amdhsa_kernarg_size 104
		.amdhsa_user_sgpr_count 6
		.amdhsa_user_sgpr_private_segment_buffer 1
		.amdhsa_user_sgpr_dispatch_ptr 0
		.amdhsa_user_sgpr_queue_ptr 0
		.amdhsa_user_sgpr_kernarg_segment_ptr 1
		.amdhsa_user_sgpr_dispatch_id 0
		.amdhsa_user_sgpr_flat_scratch_init 0
		.amdhsa_user_sgpr_private_segment_size 0
		.amdhsa_wavefront_size32 1
		.amdhsa_uses_dynamic_stack 0
		.amdhsa_system_sgpr_private_segment_wavefront_offset 0
		.amdhsa_system_sgpr_workgroup_id_x 1
		.amdhsa_system_sgpr_workgroup_id_y 0
		.amdhsa_system_sgpr_workgroup_id_z 0
		.amdhsa_system_sgpr_workgroup_info 0
		.amdhsa_system_vgpr_workitem_id 0
		.amdhsa_next_free_vgpr 255
		.amdhsa_next_free_sgpr 20
		.amdhsa_reserve_vcc 1
		.amdhsa_reserve_flat_scratch 0
		.amdhsa_float_round_mode_32 0
		.amdhsa_float_round_mode_16_64 0
		.amdhsa_float_denorm_mode_32 3
		.amdhsa_float_denorm_mode_16_64 3
		.amdhsa_dx10_clamp 1
		.amdhsa_ieee_mode 1
		.amdhsa_fp16_overflow 0
		.amdhsa_workgroup_processor_mode 1
		.amdhsa_memory_ordered 1
		.amdhsa_forward_progress 0
		.amdhsa_shared_vgpr_count 0
		.amdhsa_exception_fp_ieee_invalid_op 0
		.amdhsa_exception_fp_denorm_src 0
		.amdhsa_exception_fp_ieee_div_zero 0
		.amdhsa_exception_fp_ieee_overflow 0
		.amdhsa_exception_fp_ieee_underflow 0
		.amdhsa_exception_fp_ieee_inexact 0
		.amdhsa_exception_int_div_zero 0
	.end_amdhsa_kernel
	.text
.Lfunc_end0:
	.size	bluestein_single_fwd_len2016_dim1_sp_op_CI_CI, .Lfunc_end0-bluestein_single_fwd_len2016_dim1_sp_op_CI_CI
                                        ; -- End function
	.section	.AMDGPU.csdata,"",@progbits
; Kernel info:
; codeLenInByte = 19816
; NumSgprs: 22
; NumVgprs: 255
; ScratchSize: 0
; MemoryBound: 0
; FloatMode: 240
; IeeeMode: 1
; LDSByteSize: 32256 bytes/workgroup (compile time only)
; SGPRBlocks: 2
; VGPRBlocks: 31
; NumSGPRsForWavesPerEU: 22
; NumVGPRsForWavesPerEU: 255
; Occupancy: 4
; WaveLimiterHint : 1
; COMPUTE_PGM_RSRC2:SCRATCH_EN: 0
; COMPUTE_PGM_RSRC2:USER_SGPR: 6
; COMPUTE_PGM_RSRC2:TRAP_HANDLER: 0
; COMPUTE_PGM_RSRC2:TGID_X_EN: 1
; COMPUTE_PGM_RSRC2:TGID_Y_EN: 0
; COMPUTE_PGM_RSRC2:TGID_Z_EN: 0
; COMPUTE_PGM_RSRC2:TIDIG_COMP_CNT: 0
	.text
	.p2alignl 6, 3214868480
	.fill 48, 4, 3214868480
	.type	__hip_cuid_ce790bb5f7363b26,@object ; @__hip_cuid_ce790bb5f7363b26
	.section	.bss,"aw",@nobits
	.globl	__hip_cuid_ce790bb5f7363b26
__hip_cuid_ce790bb5f7363b26:
	.byte	0                               ; 0x0
	.size	__hip_cuid_ce790bb5f7363b26, 1

	.ident	"AMD clang version 19.0.0git (https://github.com/RadeonOpenCompute/llvm-project roc-6.4.0 25133 c7fe45cf4b819c5991fe208aaa96edf142730f1d)"
	.section	".note.GNU-stack","",@progbits
	.addrsig
	.addrsig_sym __hip_cuid_ce790bb5f7363b26
	.amdgpu_metadata
---
amdhsa.kernels:
  - .args:
      - .actual_access:  read_only
        .address_space:  global
        .offset:         0
        .size:           8
        .value_kind:     global_buffer
      - .actual_access:  read_only
        .address_space:  global
        .offset:         8
        .size:           8
        .value_kind:     global_buffer
      - .actual_access:  read_only
        .address_space:  global
        .offset:         16
        .size:           8
        .value_kind:     global_buffer
      - .actual_access:  read_only
        .address_space:  global
        .offset:         24
        .size:           8
        .value_kind:     global_buffer
      - .actual_access:  read_only
        .address_space:  global
        .offset:         32
        .size:           8
        .value_kind:     global_buffer
      - .offset:         40
        .size:           8
        .value_kind:     by_value
      - .address_space:  global
        .offset:         48
        .size:           8
        .value_kind:     global_buffer
      - .address_space:  global
        .offset:         56
        .size:           8
        .value_kind:     global_buffer
      - .address_space:  global
        .offset:         64
        .size:           8
        .value_kind:     global_buffer
      - .address_space:  global
        .offset:         72
        .size:           8
        .value_kind:     global_buffer
      - .offset:         80
        .size:           4
        .value_kind:     by_value
      - .address_space:  global
        .offset:         88
        .size:           8
        .value_kind:     global_buffer
      - .address_space:  global
        .offset:         96
        .size:           8
        .value_kind:     global_buffer
    .group_segment_fixed_size: 32256
    .kernarg_segment_align: 8
    .kernarg_segment_size: 104
    .language:       OpenCL C
    .language_version:
      - 2
      - 0
    .max_flat_workgroup_size: 224
    .name:           bluestein_single_fwd_len2016_dim1_sp_op_CI_CI
    .private_segment_fixed_size: 0
    .sgpr_count:     22
    .sgpr_spill_count: 0
    .symbol:         bluestein_single_fwd_len2016_dim1_sp_op_CI_CI.kd
    .uniform_work_group_size: 1
    .uses_dynamic_stack: false
    .vgpr_count:     255
    .vgpr_spill_count: 0
    .wavefront_size: 32
    .workgroup_processor_mode: 1
amdhsa.target:   amdgcn-amd-amdhsa--gfx1030
amdhsa.version:
  - 1
  - 2
...

	.end_amdgpu_metadata
